;; amdgpu-corpus repo=ROCm/rocFFT kind=compiled arch=gfx906 opt=O3
	.text
	.amdgcn_target "amdgcn-amd-amdhsa--gfx906"
	.amdhsa_code_object_version 6
	.protected	fft_rtc_fwd_len2016_factors_2_2_2_2_2_3_3_7_wgs_224_tpt_112_halfLds_half_op_CI_CI_unitstride_sbrr_dirReg ; -- Begin function fft_rtc_fwd_len2016_factors_2_2_2_2_2_3_3_7_wgs_224_tpt_112_halfLds_half_op_CI_CI_unitstride_sbrr_dirReg
	.globl	fft_rtc_fwd_len2016_factors_2_2_2_2_2_3_3_7_wgs_224_tpt_112_halfLds_half_op_CI_CI_unitstride_sbrr_dirReg
	.p2align	8
	.type	fft_rtc_fwd_len2016_factors_2_2_2_2_2_3_3_7_wgs_224_tpt_112_halfLds_half_op_CI_CI_unitstride_sbrr_dirReg,@function
fft_rtc_fwd_len2016_factors_2_2_2_2_2_3_3_7_wgs_224_tpt_112_halfLds_half_op_CI_CI_unitstride_sbrr_dirReg: ; @fft_rtc_fwd_len2016_factors_2_2_2_2_2_3_3_7_wgs_224_tpt_112_halfLds_half_op_CI_CI_unitstride_sbrr_dirReg
; %bb.0:
	s_load_dwordx4 s[12:15], s[4:5], 0x58
	s_load_dwordx4 s[8:11], s[4:5], 0x0
	;; [unrolled: 1-line block ×3, first 2 shown]
	v_mul_u32_u24_e32 v1, 0x24a, v0
	v_lshrrev_b32_e32 v11, 16, v1
	v_mov_b32_e32 v7, 0
	s_waitcnt lgkmcnt(0)
	v_cmp_lt_u64_e64 s[0:1], s[10:11], 2
	v_mov_b32_e32 v5, 0
	v_lshl_add_u32 v9, s6, 1, v11
	v_mov_b32_e32 v10, v7
	s_and_b64 vcc, exec, s[0:1]
	v_mov_b32_e32 v6, 0
	s_cbranch_vccnz .LBB0_8
; %bb.1:
	s_load_dwordx2 s[0:1], s[4:5], 0x10
	s_add_u32 s2, s18, 8
	s_addc_u32 s3, s19, 0
	s_add_u32 s6, s16, 8
	s_addc_u32 s7, s17, 0
	v_mov_b32_e32 v5, 0
	s_waitcnt lgkmcnt(0)
	s_add_u32 s20, s0, 8
	v_mov_b32_e32 v6, 0
	v_mov_b32_e32 v1, v5
	s_addc_u32 s21, s1, 0
	s_mov_b64 s[22:23], 1
	v_mov_b32_e32 v2, v6
.LBB0_2:                                ; =>This Inner Loop Header: Depth=1
	s_load_dwordx2 s[24:25], s[20:21], 0x0
                                        ; implicit-def: $vgpr3_vgpr4
	s_waitcnt lgkmcnt(0)
	v_or_b32_e32 v8, s25, v10
	v_cmp_ne_u64_e32 vcc, 0, v[7:8]
	s_and_saveexec_b64 s[0:1], vcc
	s_xor_b64 s[26:27], exec, s[0:1]
	s_cbranch_execz .LBB0_4
; %bb.3:                                ;   in Loop: Header=BB0_2 Depth=1
	v_cvt_f32_u32_e32 v3, s24
	v_cvt_f32_u32_e32 v4, s25
	s_sub_u32 s0, 0, s24
	s_subb_u32 s1, 0, s25
	v_mac_f32_e32 v3, 0x4f800000, v4
	v_rcp_f32_e32 v3, v3
	v_mul_f32_e32 v3, 0x5f7ffffc, v3
	v_mul_f32_e32 v4, 0x2f800000, v3
	v_trunc_f32_e32 v4, v4
	v_mac_f32_e32 v3, 0xcf800000, v4
	v_cvt_u32_f32_e32 v4, v4
	v_cvt_u32_f32_e32 v3, v3
	v_mul_lo_u32 v8, s0, v4
	v_mul_hi_u32 v12, s0, v3
	v_mul_lo_u32 v14, s1, v3
	v_mul_lo_u32 v13, s0, v3
	v_add_u32_e32 v8, v12, v8
	v_add_u32_e32 v8, v8, v14
	v_mul_hi_u32 v12, v3, v13
	v_mul_lo_u32 v14, v3, v8
	v_mul_hi_u32 v16, v3, v8
	v_mul_hi_u32 v15, v4, v13
	v_mul_lo_u32 v13, v4, v13
	v_mul_hi_u32 v17, v4, v8
	v_add_co_u32_e32 v12, vcc, v12, v14
	v_addc_co_u32_e32 v14, vcc, 0, v16, vcc
	v_mul_lo_u32 v8, v4, v8
	v_add_co_u32_e32 v12, vcc, v12, v13
	v_addc_co_u32_e32 v12, vcc, v14, v15, vcc
	v_addc_co_u32_e32 v13, vcc, 0, v17, vcc
	v_add_co_u32_e32 v8, vcc, v12, v8
	v_addc_co_u32_e32 v12, vcc, 0, v13, vcc
	v_add_co_u32_e32 v3, vcc, v3, v8
	v_addc_co_u32_e32 v4, vcc, v4, v12, vcc
	v_mul_lo_u32 v8, s0, v4
	v_mul_hi_u32 v12, s0, v3
	v_mul_lo_u32 v13, s1, v3
	v_mul_lo_u32 v14, s0, v3
	v_add_u32_e32 v8, v12, v8
	v_add_u32_e32 v8, v8, v13
	v_mul_lo_u32 v15, v3, v8
	v_mul_hi_u32 v16, v3, v14
	v_mul_hi_u32 v17, v3, v8
	;; [unrolled: 1-line block ×3, first 2 shown]
	v_mul_lo_u32 v14, v4, v14
	v_mul_hi_u32 v12, v4, v8
	v_add_co_u32_e32 v15, vcc, v16, v15
	v_addc_co_u32_e32 v16, vcc, 0, v17, vcc
	v_mul_lo_u32 v8, v4, v8
	v_add_co_u32_e32 v14, vcc, v15, v14
	v_addc_co_u32_e32 v13, vcc, v16, v13, vcc
	v_addc_co_u32_e32 v12, vcc, 0, v12, vcc
	v_add_co_u32_e32 v8, vcc, v13, v8
	v_addc_co_u32_e32 v12, vcc, 0, v12, vcc
	v_add_co_u32_e32 v8, vcc, v3, v8
	v_addc_co_u32_e32 v12, vcc, v4, v12, vcc
	v_mad_u64_u32 v[3:4], s[0:1], v9, v12, 0
	v_mul_hi_u32 v13, v9, v8
	v_add_co_u32_e32 v14, vcc, v13, v3
	v_addc_co_u32_e32 v15, vcc, 0, v4, vcc
	v_mad_u64_u32 v[3:4], s[0:1], v10, v8, 0
	v_mad_u64_u32 v[12:13], s[0:1], v10, v12, 0
	v_add_co_u32_e32 v3, vcc, v14, v3
	v_addc_co_u32_e32 v3, vcc, v15, v4, vcc
	v_addc_co_u32_e32 v4, vcc, 0, v13, vcc
	v_add_co_u32_e32 v8, vcc, v3, v12
	v_addc_co_u32_e32 v12, vcc, 0, v4, vcc
	v_mul_lo_u32 v13, s25, v8
	v_mul_lo_u32 v14, s24, v12
	v_mad_u64_u32 v[3:4], s[0:1], s24, v8, 0
	v_add3_u32 v4, v4, v14, v13
	v_sub_u32_e32 v13, v10, v4
	v_mov_b32_e32 v14, s25
	v_sub_co_u32_e32 v3, vcc, v9, v3
	v_subb_co_u32_e64 v13, s[0:1], v13, v14, vcc
	v_subrev_co_u32_e64 v14, s[0:1], s24, v3
	v_subbrev_co_u32_e64 v13, s[0:1], 0, v13, s[0:1]
	v_cmp_le_u32_e64 s[0:1], s25, v13
	v_cndmask_b32_e64 v15, 0, -1, s[0:1]
	v_cmp_le_u32_e64 s[0:1], s24, v14
	v_cndmask_b32_e64 v14, 0, -1, s[0:1]
	v_cmp_eq_u32_e64 s[0:1], s25, v13
	v_cndmask_b32_e64 v13, v15, v14, s[0:1]
	v_add_co_u32_e64 v14, s[0:1], 2, v8
	v_addc_co_u32_e64 v15, s[0:1], 0, v12, s[0:1]
	v_add_co_u32_e64 v16, s[0:1], 1, v8
	v_addc_co_u32_e64 v17, s[0:1], 0, v12, s[0:1]
	v_subb_co_u32_e32 v4, vcc, v10, v4, vcc
	v_cmp_ne_u32_e64 s[0:1], 0, v13
	v_cmp_le_u32_e32 vcc, s25, v4
	v_cndmask_b32_e64 v13, v17, v15, s[0:1]
	v_cndmask_b32_e64 v15, 0, -1, vcc
	v_cmp_le_u32_e32 vcc, s24, v3
	v_cndmask_b32_e64 v3, 0, -1, vcc
	v_cmp_eq_u32_e32 vcc, s25, v4
	v_cndmask_b32_e32 v3, v15, v3, vcc
	v_cmp_ne_u32_e32 vcc, 0, v3
	v_cndmask_b32_e64 v3, v16, v14, s[0:1]
	v_cndmask_b32_e32 v4, v12, v13, vcc
	v_cndmask_b32_e32 v3, v8, v3, vcc
.LBB0_4:                                ;   in Loop: Header=BB0_2 Depth=1
	s_andn2_saveexec_b64 s[0:1], s[26:27]
	s_cbranch_execz .LBB0_6
; %bb.5:                                ;   in Loop: Header=BB0_2 Depth=1
	v_cvt_f32_u32_e32 v3, s24
	s_sub_i32 s26, 0, s24
	v_rcp_iflag_f32_e32 v3, v3
	v_mul_f32_e32 v3, 0x4f7ffffe, v3
	v_cvt_u32_f32_e32 v3, v3
	v_mul_lo_u32 v4, s26, v3
	v_mul_hi_u32 v4, v3, v4
	v_add_u32_e32 v3, v3, v4
	v_mul_hi_u32 v3, v9, v3
	v_mul_lo_u32 v4, v3, s24
	v_add_u32_e32 v8, 1, v3
	v_sub_u32_e32 v4, v9, v4
	v_subrev_u32_e32 v12, s24, v4
	v_cmp_le_u32_e32 vcc, s24, v4
	v_cndmask_b32_e32 v4, v4, v12, vcc
	v_cndmask_b32_e32 v3, v3, v8, vcc
	v_add_u32_e32 v8, 1, v3
	v_cmp_le_u32_e32 vcc, s24, v4
	v_cndmask_b32_e32 v3, v3, v8, vcc
	v_mov_b32_e32 v4, v7
.LBB0_6:                                ;   in Loop: Header=BB0_2 Depth=1
	s_or_b64 exec, exec, s[0:1]
	v_mul_lo_u32 v8, v4, s24
	v_mul_lo_u32 v14, v3, s25
	v_mad_u64_u32 v[12:13], s[0:1], v3, s24, 0
	s_load_dwordx2 s[0:1], s[6:7], 0x0
	s_load_dwordx2 s[24:25], s[2:3], 0x0
	v_add3_u32 v8, v13, v14, v8
	v_sub_co_u32_e32 v9, vcc, v9, v12
	v_subb_co_u32_e32 v8, vcc, v10, v8, vcc
	s_waitcnt lgkmcnt(0)
	v_mul_lo_u32 v10, s0, v8
	v_mul_lo_u32 v12, s1, v9
	v_mad_u64_u32 v[5:6], s[0:1], s0, v9, v[5:6]
	v_mul_lo_u32 v8, s24, v8
	v_mul_lo_u32 v13, s25, v9
	v_mad_u64_u32 v[1:2], s[0:1], s24, v9, v[1:2]
	s_add_u32 s22, s22, 1
	s_addc_u32 s23, s23, 0
	s_add_u32 s2, s2, 8
	v_add3_u32 v2, v13, v2, v8
	s_addc_u32 s3, s3, 0
	v_mov_b32_e32 v8, s10
	s_add_u32 s6, s6, 8
	v_mov_b32_e32 v9, s11
	s_addc_u32 s7, s7, 0
	v_cmp_ge_u64_e32 vcc, s[22:23], v[8:9]
	s_add_u32 s20, s20, 8
	v_add3_u32 v6, v12, v6, v10
	s_addc_u32 s21, s21, 0
	s_cbranch_vccnz .LBB0_9
; %bb.7:                                ;   in Loop: Header=BB0_2 Depth=1
	v_mov_b32_e32 v10, v4
	v_mov_b32_e32 v9, v3
	s_branch .LBB0_2
.LBB0_8:
	v_mov_b32_e32 v1, v5
	v_mov_b32_e32 v3, v9
	;; [unrolled: 1-line block ×4, first 2 shown]
.LBB0_9:
	s_load_dwordx2 s[0:1], s[4:5], 0x28
	s_lshl_b64 s[6:7], s[10:11], 3
	s_add_u32 s2, s18, s6
	s_addc_u32 s3, s19, s7
                                        ; implicit-def: $sgpr10
                                        ; implicit-def: $vgpr7
                                        ; implicit-def: $vgpr8
	s_waitcnt lgkmcnt(0)
	v_cmp_gt_u64_e32 vcc, s[0:1], v[3:4]
	v_cmp_le_u64_e64 s[0:1], s[0:1], v[3:4]
	s_and_saveexec_b64 s[4:5], s[0:1]
	s_xor_b64 s[0:1], exec, s[4:5]
; %bb.10:
	s_mov_b32 s4, 0x2492493
	v_mul_hi_u32 v5, v0, s4
	s_mov_b32 s10, 0
	v_mul_u32_u24_e32 v5, 0x70, v5
	v_sub_u32_e32 v7, v0, v5
	v_or_b32_e32 v8, 0x380, v7
                                        ; implicit-def: $vgpr0
                                        ; implicit-def: $vgpr5_vgpr6
; %bb.11:
	s_or_saveexec_b64 s[4:5], s[0:1]
	v_mov_b32_e32 v10, s10
	v_mov_b32_e32 v29, s10
	;; [unrolled: 1-line block ×9, first 2 shown]
                                        ; implicit-def: $vgpr15
                                        ; implicit-def: $vgpr12
                                        ; implicit-def: $vgpr30
                                        ; implicit-def: $vgpr13
                                        ; implicit-def: $vgpr27
                                        ; implicit-def: $vgpr14
                                        ; implicit-def: $vgpr26
                                        ; implicit-def: $vgpr35
                                        ; implicit-def: $vgpr24
                                        ; implicit-def: $vgpr36
                                        ; implicit-def: $vgpr21
                                        ; implicit-def: $vgpr37
                                        ; implicit-def: $vgpr20
                                        ; implicit-def: $vgpr16
                                        ; implicit-def: $vgpr17
                                        ; implicit-def: $vgpr33
                                        ; implicit-def: $vgpr18
                                        ; implicit-def: $vgpr34
	s_xor_b64 exec, exec, s[4:5]
	s_cbranch_execz .LBB0_13
; %bb.12:
	s_add_u32 s0, s16, s6
	s_addc_u32 s1, s17, s7
	s_load_dwordx2 s[0:1], s[0:1], 0x0
	s_mov_b32 s6, 0x2492493
	v_mul_hi_u32 v7, v0, s6
	v_lshlrev_b64 v[5:6], 2, v[5:6]
	s_waitcnt lgkmcnt(0)
	v_mul_lo_u32 v10, s1, v3
	v_mul_lo_u32 v12, s0, v4
	v_mad_u64_u32 v[8:9], s[0:1], s0, v3, 0
	v_mul_u32_u24_e32 v7, 0x70, v7
	v_sub_u32_e32 v7, v0, v7
	v_add3_u32 v9, v9, v12, v10
	v_lshlrev_b64 v[8:9], 2, v[8:9]
	v_mov_b32_e32 v0, s13
	v_add_co_u32_e64 v8, s[0:1], s12, v8
	v_addc_co_u32_e64 v0, s[0:1], v0, v9, s[0:1]
	v_add_co_u32_e64 v10, s[0:1], v8, v5
	v_addc_co_u32_e64 v0, s[0:1], v0, v6, s[0:1]
	v_lshlrev_b32_e32 v15, 2, v7
	v_add_co_u32_e64 v5, s[0:1], v10, v15
	v_addc_co_u32_e64 v6, s[0:1], 0, v0, s[0:1]
	s_movk_i32 s0, 0x1000
	v_add_co_u32_e64 v8, s[0:1], s0, v5
	v_addc_co_u32_e64 v9, s[0:1], 0, v6, s[0:1]
	v_or_b32_e32 v15, 0x1c00, v15
	v_add_co_u32_e64 v17, s[0:1], v10, v15
	global_load_dword v12, v[5:6], off offset:4032
	global_load_dword v13, v[8:9], off offset:384
	global_load_dword v14, v[8:9], off offset:832
	global_load_dword v35, v[8:9], off offset:1280
	global_load_dword v36, v[8:9], off offset:1728
	global_load_dword v37, v[8:9], off offset:2176
	global_load_dword v16, v[8:9], off offset:2624
	v_addc_co_u32_e64 v18, s[0:1], 0, v0, s[0:1]
	global_load_dword v33, v[17:18], off
	global_load_dword v10, v[5:6], off
	global_load_dword v29, v[5:6], off offset:448
	global_load_dword v32, v[5:6], off offset:896
	;; [unrolled: 1-line block ×9, first 2 shown]
	v_or_b32_e32 v8, 0x380, v7
	s_waitcnt vmcnt(10)
	v_lshrrev_b32_e32 v17, 16, v33
	v_lshrrev_b32_e32 v15, 16, v12
	;; [unrolled: 1-line block ×8, first 2 shown]
	s_waitcnt vmcnt(1)
	v_lshrrev_b32_e32 v18, 16, v34
.LBB0_13:
	s_or_b64 exec, exec, s[4:5]
	v_and_b32_e32 v0, 1, v11
	v_mov_b32_e32 v5, 0xfc0
	v_cmp_eq_u32_e64 s[0:1], 1, v0
	v_cndmask_b32_e64 v9, 0, v5, s[0:1]
	v_sub_f16_e32 v0, v10, v12
	v_fma_f16 v5, v10, 2.0, -v0
	v_sub_f16_e32 v12, v32, v14
	v_add_u32_e32 v14, 0, v9
	v_sub_f16_e32 v6, v29, v13
	v_pack_b32_f16 v0, v5, v0
	v_lshl_add_u32 v40, v7, 2, v14
	v_fma_f16 v11, v29, 2.0, -v6
	ds_write_b32 v40, v0
	v_add_u32_e32 v0, 0x70, v7
	v_pack_b32_f16 v5, v11, v6
	v_lshl_add_u32 v41, v0, 2, v14
	v_fma_f16 v13, v32, 2.0, -v12
	v_sub_f16_e32 v35, v31, v35
	ds_write_b32 v41, v5
	v_add_u32_e32 v5, 0xe0, v7
	v_fma_f16 v38, v31, 2.0, -v35
	v_sub_f16_e32 v36, v28, v36
	v_pack_b32_f16 v6, v13, v12
	v_lshl_add_u32 v42, v5, 2, v14
	v_add_u32_e32 v13, 0x150, v7
	v_fma_f16 v39, v28, 2.0, -v36
	ds_write_b32 v42, v6
	v_pack_b32_f16 v6, v38, v35
	v_lshl_add_u32 v35, v13, 2, v14
	v_add_u32_e32 v12, 0x1c0, v7
	v_sub_f16_e32 v37, v25, v37
	ds_write_b32 v35, v6
	v_pack_b32_f16 v6, v39, v36
	v_lshl_add_u32 v36, v12, 2, v14
	ds_write_b32 v36, v6
	v_fma_f16 v6, v25, 2.0, -v37
	v_add_u32_e32 v11, 0x230, v7
	v_pack_b32_f16 v6, v6, v37
	v_lshl_add_u32 v37, v11, 2, v14
	ds_write_b32 v37, v6
	v_sub_f16_e32 v6, v22, v16
	v_fma_f16 v16, v22, 2.0, -v6
	v_add_u32_e32 v38, 0x2a0, v7
	v_pack_b32_f16 v6, v16, v6
	v_lshl_add_u32 v39, v38, 2, v14
	ds_write_b32 v39, v6
	v_sub_f16_e32 v6, v19, v33
	v_fma_f16 v16, v19, 2.0, -v6
	v_add_u32_e32 v33, 0x310, v7
	v_pack_b32_f16 v6, v16, v6
	v_lshl_add_u32 v43, v33, 2, v14
	ds_write_b32 v43, v6
	s_waitcnt vmcnt(0)
	v_sub_f16_e32 v6, v23, v34
	v_fma_f16 v16, v23, 2.0, -v6
	v_pack_b32_f16 v6, v16, v6
	v_lshl_add_u32 v34, v8, 2, v14
	ds_write_b32 v34, v6
	v_lshrrev_b32_e32 v6, 16, v10
	v_lshrrev_b32_e32 v29, 16, v29
	v_sub_f16_e32 v10, v6, v15
	v_sub_f16_e32 v30, v29, v30
	v_fma_f16 v6, v6, 2.0, -v10
	v_lshlrev_b32_e32 v15, 1, v8
	v_lshlrev_b32_e32 v16, 1, v7
	v_fma_f16 v29, v29, 2.0, -v30
	v_pack_b32_f16 v44, v6, v10
	v_add_u32_e32 v8, v14, v16
	v_sub_u32_e32 v10, v34, v15
	v_pack_b32_f16 v29, v29, v30
	s_load_dwordx2 s[2:3], s[2:3], 0x0
	s_waitcnt lgkmcnt(0)
	s_barrier
	v_add3_u32 v6, 0, v16, v9
	ds_read_u16 v45, v8
	ds_read_u16 v46, v6 offset:224
	ds_read_u16 v47, v6 offset:448
	;; [unrolled: 1-line block ×15, first 2 shown]
	ds_read_u16 v61, v10
	ds_read_u16 v62, v6 offset:3808
	s_waitcnt lgkmcnt(0)
	s_barrier
	ds_write_b32 v41, v29
	v_lshrrev_b32_e32 v29, 16, v32
	v_sub_f16_e32 v27, v29, v27
	v_fma_f16 v29, v29, 2.0, -v27
	v_pack_b32_f16 v27, v29, v27
	ds_write_b32 v42, v27
	v_lshrrev_b32_e32 v27, 16, v31
	v_sub_f16_e32 v26, v27, v26
	v_fma_f16 v27, v27, 2.0, -v26
	v_pack_b32_f16 v26, v27, v26
	ds_write_b32 v35, v26
	v_lshrrev_b32_e32 v26, 16, v28
	v_sub_f16_e32 v24, v26, v24
	v_fma_f16 v26, v26, 2.0, -v24
	v_pack_b32_f16 v24, v26, v24
	ds_write_b32 v36, v24
	v_lshrrev_b32_e32 v24, 16, v25
	v_lshrrev_b32_e32 v19, 16, v19
	v_sub_f16_e32 v21, v24, v21
	v_sub_f16_e32 v17, v19, v17
	v_fma_f16 v24, v24, 2.0, -v21
	v_fma_f16 v19, v19, 2.0, -v17
	v_pack_b32_f16 v21, v24, v21
	v_pack_b32_f16 v17, v19, v17
	ds_write_b32 v37, v21
	v_lshrrev_b32_e32 v21, 16, v22
	ds_write_b32 v43, v17
	v_lshrrev_b32_e32 v17, 16, v23
	v_sub_f16_e32 v20, v21, v20
	v_sub_f16_e32 v18, v17, v18
	v_fma_f16 v21, v21, 2.0, -v20
	v_fma_f16 v17, v17, 2.0, -v18
	v_pack_b32_f16 v20, v21, v20
	v_pack_b32_f16 v17, v17, v18
	v_and_b32_e32 v24, 1, v7
	ds_write_b32 v40, v44
	ds_write_b32 v39, v20
	ds_write_b32 v34, v17
	v_lshlrev_b32_e32 v17, 2, v24
	s_waitcnt lgkmcnt(0)
	s_barrier
	global_load_dword v17, v17, s[8:9]
	ds_read_u16 v18, v6 offset:2016
	ds_read_u16 v19, v6 offset:2240
	;; [unrolled: 1-line block ×9, first 2 shown]
	s_movk_i32 s0, 0xfc
	s_movk_i32 s1, 0x5fc
	;; [unrolled: 1-line block ×3, first 2 shown]
	s_mov_b32 s7, 0xbaee
	s_waitcnt vmcnt(0) lgkmcnt(8)
	v_mul_f16_sdwa v27, v18, v17 dst_sel:DWORD dst_unused:UNUSED_PAD src0_sel:DWORD src1_sel:WORD_1
	v_mul_f16_sdwa v28, v53, v17 dst_sel:DWORD dst_unused:UNUSED_PAD src0_sel:DWORD src1_sel:WORD_1
	;; [unrolled: 1-line block ×9, first 2 shown]
	v_fma_f16 v27, v53, v17, -v27
	v_fma_f16 v28, v18, v17, v28
	s_waitcnt lgkmcnt(7)
	v_mul_f16_sdwa v18, v19, v17 dst_sel:DWORD dst_unused:UNUSED_PAD src0_sel:DWORD src1_sel:WORD_1
	v_fma_f16 v29, v19, v17, v29
	s_waitcnt lgkmcnt(6)
	v_mul_f16_sdwa v19, v20, v17 dst_sel:DWORD dst_unused:UNUSED_PAD src0_sel:DWORD src1_sel:WORD_1
	;; [unrolled: 3-line block ×7, first 2 shown]
	v_fma_f16 v26, v26, v17, v37
	ds_read_u16 v37, v10
	s_waitcnt lgkmcnt(1)
	v_mul_f16_sdwa v39, v36, v17 dst_sel:DWORD dst_unused:UNUSED_PAD src0_sel:DWORD src1_sel:WORD_1
	v_mul_f16_sdwa v40, v62, v17 dst_sel:DWORD dst_unused:UNUSED_PAD src0_sel:DWORD src1_sel:WORD_1
	v_fma_f16 v18, v54, v17, -v18
	v_fma_f16 v19, v55, v17, -v19
	;; [unrolled: 1-line block ×8, first 2 shown]
	v_fma_f16 v36, v36, v17, v40
	v_sub_f16_e32 v17, v45, v27
	v_and_or_b32 v55, v16, s0, v24
	v_fma_f16 v27, v45, 2.0, -v17
	v_lshl_add_u32 v55, v55, 1, v14
	ds_read_u16 v40, v8
	ds_read_u16 v41, v6 offset:224
	ds_read_u16 v42, v6 offset:448
	;; [unrolled: 1-line block ×7, first 2 shown]
	s_waitcnt lgkmcnt(0)
	s_barrier
	ds_write_b16 v55, v27
	ds_write_b16 v55, v17 offset:4
	v_sub_f16_e32 v18, v46, v18
	s_movk_i32 s0, 0x1fc
	v_lshlrev_b32_e32 v17, 1, v0
	v_fma_f16 v27, v46, 2.0, -v18
	v_and_or_b32 v46, v17, s0, v24
	v_lshl_add_u32 v46, v46, 1, v14
	ds_write_b16 v46, v27
	ds_write_b16 v46, v18 offset:4
	v_sub_f16_e32 v19, v47, v19
	s_movk_i32 s0, 0x3fc
	v_lshlrev_b32_e32 v18, 1, v5
	v_fma_f16 v27, v47, 2.0, -v19
	v_and_or_b32 v47, v18, s0, v24
	v_lshl_add_u32 v47, v47, 1, v14
	ds_write_b16 v47, v27
	ds_write_b16 v47, v19 offset:4
	v_sub_f16_e32 v20, v48, v20
	v_lshlrev_b32_e32 v19, 1, v13
	v_fma_f16 v27, v48, 2.0, -v20
	v_and_or_b32 v48, v19, s0, v24
	v_lshl_add_u32 v48, v48, 1, v14
	ds_write_b16 v48, v27
	ds_write_b16 v48, v20 offset:4
	v_sub_f16_e32 v21, v49, v21
	s_movk_i32 s0, 0x7fc
	v_lshlrev_b32_e32 v20, 1, v12
	v_fma_f16 v27, v49, 2.0, -v21
	v_and_or_b32 v49, v20, s0, v24
	v_lshl_add_u32 v49, v49, 1, v14
	ds_write_b16 v49, v27
	ds_write_b16 v49, v21 offset:4
	v_sub_f16_e32 v21, v50, v22
	v_lshlrev_b32_e32 v22, 1, v11
	v_fma_f16 v27, v50, 2.0, -v21
	v_and_or_b32 v50, v22, s1, v24
	v_lshl_add_u32 v50, v50, 1, v14
	ds_write_b16 v50, v27
	ds_write_b16 v50, v21 offset:4
	v_lshlrev_b32_e32 v21, 1, v38
	v_sub_f16_e32 v23, v51, v23
	v_and_or_b32 v38, v21, s0, v24
	v_fma_f16 v27, v51, 2.0, -v23
	v_lshl_add_u32 v38, v38, 1, v14
	ds_write_b16 v38, v27
	ds_write_b16 v38, v23 offset:4
	v_lshlrev_b32_e32 v23, 1, v33
	v_sub_f16_e32 v27, v52, v35
	v_and_or_b32 v35, v23, s0, v24
	v_fma_f16 v33, v52, 2.0, -v27
	v_lshl_add_u32 v35, v35, 1, v14
	ds_write_b16 v35, v33
	ds_write_b16 v35, v27 offset:4
	v_sub_f16_e32 v27, v61, v39
	v_and_or_b32 v24, v15, s0, v24
	v_fma_f16 v33, v61, 2.0, -v27
	v_lshl_add_u32 v24, v24, 1, v14
	ds_write_b16 v24, v33
	ds_write_b16 v24, v27 offset:4
	v_sub_f16_e32 v27, v40, v28
	v_fma_f16 v28, v40, 2.0, -v27
	s_waitcnt lgkmcnt(0)
	s_barrier
	ds_read_u16 v33, v8
	ds_read_u16 v39, v6 offset:224
	ds_read_u16 v40, v6 offset:448
	;; [unrolled: 1-line block ×15, first 2 shown]
	ds_read_u16 v67, v10
	ds_read_u16 v68, v6 offset:3808
	s_waitcnt lgkmcnt(0)
	s_barrier
	ds_write_b16 v55, v28
	ds_write_b16 v55, v27 offset:4
	v_sub_f16_e32 v27, v41, v29
	v_fma_f16 v28, v41, 2.0, -v27
	ds_write_b16 v46, v28
	ds_write_b16 v46, v27 offset:4
	v_sub_f16_e32 v27, v42, v30
	v_fma_f16 v28, v42, 2.0, -v27
	;; [unrolled: 4-line block ×5, first 2 shown]
	v_sub_f16_e32 v25, v53, v25
	ds_write_b16 v50, v28
	ds_write_b16 v50, v27 offset:4
	v_fma_f16 v27, v53, 2.0, -v25
	ds_write_b16 v38, v27
	ds_write_b16 v38, v25 offset:4
	v_sub_f16_e32 v25, v54, v26
	v_fma_f16 v26, v54, 2.0, -v25
	ds_write_b16 v35, v26
	ds_write_b16 v35, v25 offset:4
	v_sub_f16_e32 v25, v37, v36
	v_fma_f16 v26, v37, 2.0, -v25
	ds_write_b16 v24, v26
	ds_write_b16 v24, v25 offset:4
	v_and_b32_e32 v24, 3, v7
	v_lshlrev_b32_e32 v25, 2, v24
	s_waitcnt lgkmcnt(0)
	s_barrier
	global_load_dword v25, v25, s[8:9] offset:8
	ds_read_u16 v26, v6 offset:2016
	ds_read_u16 v27, v6 offset:2240
	;; [unrolled: 1-line block ×9, first 2 shown]
	s_movk_i32 s0, 0xf8
	s_movk_i32 s1, 0x5f8
	s_waitcnt vmcnt(0) lgkmcnt(8)
	v_mul_f16_sdwa v35, v26, v25 dst_sel:DWORD dst_unused:UNUSED_PAD src0_sel:DWORD src1_sel:WORD_1
	v_mul_f16_sdwa v36, v59, v25 dst_sel:DWORD dst_unused:UNUSED_PAD src0_sel:DWORD src1_sel:WORD_1
	v_fma_f16 v35, v59, v25, -v35
	v_fma_f16 v26, v26, v25, v36
	s_waitcnt lgkmcnt(7)
	v_mul_f16_sdwa v36, v27, v25 dst_sel:DWORD dst_unused:UNUSED_PAD src0_sel:DWORD src1_sel:WORD_1
	v_fma_f16 v36, v60, v25, -v36
	v_mul_f16_sdwa v37, v60, v25 dst_sel:DWORD dst_unused:UNUSED_PAD src0_sel:DWORD src1_sel:WORD_1
	v_mul_f16_sdwa v38, v61, v25 dst_sel:DWORD dst_unused:UNUSED_PAD src0_sel:DWORD src1_sel:WORD_1
	;; [unrolled: 1-line block ×7, first 2 shown]
	v_sub_f16_e32 v35, v33, v35
	v_and_or_b32 v60, v16, s0, v24
	v_fma_f16 v27, v27, v25, v37
	s_waitcnt lgkmcnt(6)
	v_mul_f16_sdwa v37, v28, v25 dst_sel:DWORD dst_unused:UNUSED_PAD src0_sel:DWORD src1_sel:WORD_1
	v_fma_f16 v28, v28, v25, v38
	s_waitcnt lgkmcnt(5)
	v_mul_f16_sdwa v38, v29, v25 dst_sel:DWORD dst_unused:UNUSED_PAD src0_sel:DWORD src1_sel:WORD_1
	;; [unrolled: 3-line block ×6, first 2 shown]
	v_fma_f16 v34, v34, v25, v46
	ds_read_u16 v46, v10
	s_waitcnt lgkmcnt(1)
	v_mul_f16_sdwa v47, v45, v25 dst_sel:DWORD dst_unused:UNUSED_PAD src0_sel:DWORD src1_sel:WORD_1
	v_mul_f16_sdwa v48, v68, v25 dst_sel:DWORD dst_unused:UNUSED_PAD src0_sel:DWORD src1_sel:WORD_1
	v_fma_f16 v33, v33, 2.0, -v35
	v_lshl_add_u32 v60, v60, 1, v14
	s_movk_i32 s0, 0x1f8
	v_fma_f16 v37, v61, v25, -v37
	v_fma_f16 v38, v62, v25, -v38
	;; [unrolled: 1-line block ×7, first 2 shown]
	v_fma_f16 v25, v45, v25, v48
	ds_read_u16 v45, v8
	ds_read_u16 v48, v6 offset:224
	ds_read_u16 v49, v6 offset:448
	;; [unrolled: 1-line block ×7, first 2 shown]
	s_waitcnt lgkmcnt(0)
	s_barrier
	ds_write_b16 v60, v33
	ds_write_b16 v60, v35 offset:8
	v_sub_f16_e32 v33, v39, v36
	v_and_or_b32 v36, v17, s0, v24
	v_fma_f16 v35, v39, 2.0, -v33
	v_lshl_add_u32 v36, v36, 1, v14
	s_movk_i32 s0, 0x3f8
	ds_write_b16 v36, v35
	ds_write_b16 v36, v33 offset:8
	v_sub_f16_e32 v33, v40, v37
	v_and_or_b32 v37, v18, s0, v24
	v_fma_f16 v35, v40, 2.0, -v33
	v_lshl_add_u32 v37, v37, 1, v14
	ds_write_b16 v37, v35
	ds_write_b16 v37, v33 offset:8
	v_sub_f16_e32 v33, v51, v38
	v_and_or_b32 v38, v19, s0, v24
	v_fma_f16 v35, v51, 2.0, -v33
	v_lshl_add_u32 v38, v38, 1, v14
	s_movk_i32 s0, 0x7f8
	ds_write_b16 v38, v35
	ds_write_b16 v38, v33 offset:8
	v_sub_f16_e32 v33, v52, v41
	v_and_or_b32 v39, v20, s0, v24
	v_fma_f16 v35, v52, 2.0, -v33
	v_lshl_add_u32 v39, v39, 1, v14
	ds_write_b16 v39, v35
	ds_write_b16 v39, v33 offset:8
	v_sub_f16_e32 v33, v56, v42
	v_and_or_b32 v40, v22, s1, v24
	v_fma_f16 v35, v56, 2.0, -v33
	v_lshl_add_u32 v40, v40, 1, v14
	;; [unrolled: 6-line block ×5, first 2 shown]
	v_sub_f16_e32 v26, v45, v26
	ds_write_b16 v24, v35
	ds_write_b16 v24, v33 offset:8
	v_fma_f16 v33, v45, 2.0, -v26
	s_waitcnt lgkmcnt(0)
	s_barrier
	ds_read_u16 v35, v8
	ds_read_u16 v43, v6 offset:224
	ds_read_u16 v44, v6 offset:448
	;; [unrolled: 1-line block ×15, first 2 shown]
	ds_read_u16 v67, v10
	ds_read_u16 v68, v6 offset:3808
	s_waitcnt lgkmcnt(0)
	s_barrier
	ds_write_b16 v60, v33
	ds_write_b16 v60, v26 offset:8
	v_sub_f16_e32 v26, v48, v27
	v_fma_f16 v27, v48, 2.0, -v26
	ds_write_b16 v36, v27
	ds_write_b16 v36, v26 offset:8
	v_sub_f16_e32 v26, v49, v28
	v_fma_f16 v27, v49, 2.0, -v26
	;; [unrolled: 4-line block ×7, first 2 shown]
	v_sub_f16_e32 v25, v46, v25
	ds_write_b16 v42, v27
	ds_write_b16 v42, v26 offset:8
	v_fma_f16 v26, v46, 2.0, -v25
	ds_write_b16 v24, v26
	ds_write_b16 v24, v25 offset:8
	v_and_b32_e32 v24, 7, v7
	v_lshlrev_b32_e32 v25, 2, v24
	s_waitcnt lgkmcnt(0)
	s_barrier
	global_load_dword v25, v25, s[8:9] offset:24
	ds_read_u16 v26, v6 offset:2016
	ds_read_u16 v27, v6 offset:2240
	;; [unrolled: 1-line block ×9, first 2 shown]
	s_movk_i32 s0, 0xf0
	v_and_or_b32 v60, v16, s0, v24
	v_lshl_add_u32 v60, v60, 1, v14
	s_movk_i32 s0, 0x1f0
	s_movk_i32 s1, 0x5f0
	s_waitcnt vmcnt(0) lgkmcnt(8)
	v_mul_f16_sdwa v34, v26, v25 dst_sel:DWORD dst_unused:UNUSED_PAD src0_sel:DWORD src1_sel:WORD_1
	v_fma_f16 v34, v57, v25, -v34
	v_mul_f16_sdwa v36, v57, v25 dst_sel:DWORD dst_unused:UNUSED_PAD src0_sel:DWORD src1_sel:WORD_1
	v_fma_f16 v26, v26, v25, v36
	s_waitcnt lgkmcnt(7)
	v_mul_f16_sdwa v36, v27, v25 dst_sel:DWORD dst_unused:UNUSED_PAD src0_sel:DWORD src1_sel:WORD_1
	v_mul_f16_sdwa v37, v58, v25 dst_sel:DWORD dst_unused:UNUSED_PAD src0_sel:DWORD src1_sel:WORD_1
	;; [unrolled: 1-line block ×8, first 2 shown]
	v_sub_f16_e32 v34, v35, v34
	v_fma_f16 v36, v58, v25, -v36
	v_fma_f16 v27, v27, v25, v37
	s_waitcnt lgkmcnt(6)
	v_mul_f16_sdwa v37, v28, v25 dst_sel:DWORD dst_unused:UNUSED_PAD src0_sel:DWORD src1_sel:WORD_1
	v_fma_f16 v28, v28, v25, v38
	s_waitcnt lgkmcnt(5)
	v_mul_f16_sdwa v38, v29, v25 dst_sel:DWORD dst_unused:UNUSED_PAD src0_sel:DWORD src1_sel:WORD_1
	;; [unrolled: 3-line block ×6, first 2 shown]
	v_fma_f16 v33, v33, v25, v48
	ds_read_u16 v48, v10
	s_waitcnt lgkmcnt(1)
	v_mul_f16_sdwa v49, v46, v25 dst_sel:DWORD dst_unused:UNUSED_PAD src0_sel:DWORD src1_sel:WORD_1
	v_mul_f16_sdwa v50, v68, v25 dst_sel:DWORD dst_unused:UNUSED_PAD src0_sel:DWORD src1_sel:WORD_1
	v_fma_f16 v35, v35, 2.0, -v34
	v_fma_f16 v37, v61, v25, -v37
	v_fma_f16 v38, v62, v25, -v38
	;; [unrolled: 1-line block ×7, first 2 shown]
	v_fma_f16 v25, v46, v25, v50
	ds_read_u16 v46, v8
	ds_read_u16 v50, v6 offset:224
	ds_read_u16 v53, v6 offset:448
	;; [unrolled: 1-line block ×7, first 2 shown]
	s_waitcnt lgkmcnt(0)
	s_barrier
	ds_write_b16 v60, v35
	ds_write_b16 v60, v34 offset:16
	v_sub_f16_e32 v34, v43, v36
	v_and_or_b32 v36, v17, s0, v24
	v_fma_f16 v35, v43, 2.0, -v34
	v_lshl_add_u32 v36, v36, 1, v14
	s_movk_i32 s0, 0x3f0
	ds_write_b16 v36, v35
	ds_write_b16 v36, v34 offset:16
	v_sub_f16_e32 v34, v44, v37
	v_and_or_b32 v37, v18, s0, v24
	v_fma_f16 v35, v44, 2.0, -v34
	v_lshl_add_u32 v37, v37, 1, v14
	ds_write_b16 v37, v35
	ds_write_b16 v37, v34 offset:16
	v_sub_f16_e32 v34, v45, v38
	v_and_or_b32 v38, v19, s0, v24
	v_fma_f16 v35, v45, 2.0, -v34
	v_lshl_add_u32 v38, v38, 1, v14
	s_movk_i32 s0, 0x7f0
	ds_write_b16 v38, v35
	ds_write_b16 v38, v34 offset:16
	v_sub_f16_e32 v34, v47, v39
	v_and_or_b32 v39, v20, s0, v24
	v_fma_f16 v35, v47, 2.0, -v34
	v_lshl_add_u32 v39, v39, 1, v14
	ds_write_b16 v39, v35
	ds_write_b16 v39, v34 offset:16
	v_sub_f16_e32 v34, v51, v40
	v_and_or_b32 v40, v22, s1, v24
	v_fma_f16 v35, v51, 2.0, -v34
	v_lshl_add_u32 v40, v40, 1, v14
	;; [unrolled: 6-line block ×5, first 2 shown]
	v_sub_f16_e32 v26, v46, v26
	ds_write_b16 v24, v35
	ds_write_b16 v24, v34 offset:16
	v_fma_f16 v34, v46, 2.0, -v26
	s_waitcnt lgkmcnt(0)
	s_barrier
	ds_read_u16 v35, v8
	ds_read_u16 v43, v6 offset:224
	ds_read_u16 v44, v6 offset:448
	;; [unrolled: 1-line block ×15, first 2 shown]
	ds_read_u16 v67, v10
	ds_read_u16 v68, v6 offset:3808
	s_waitcnt lgkmcnt(0)
	s_barrier
	ds_write_b16 v60, v34
	ds_write_b16 v60, v26 offset:16
	v_sub_f16_e32 v26, v50, v27
	v_fma_f16 v27, v50, 2.0, -v26
	ds_write_b16 v36, v27
	ds_write_b16 v36, v26 offset:16
	v_sub_f16_e32 v26, v53, v28
	v_fma_f16 v27, v53, 2.0, -v26
	;; [unrolled: 4-line block ×7, first 2 shown]
	v_sub_f16_e32 v25, v48, v25
	ds_write_b16 v42, v27
	ds_write_b16 v42, v26 offset:16
	v_fma_f16 v26, v48, 2.0, -v25
	ds_write_b16 v24, v26
	ds_write_b16 v24, v25 offset:16
	v_and_b32_e32 v24, 15, v7
	v_lshlrev_b32_e32 v25, 2, v24
	s_waitcnt lgkmcnt(0)
	s_barrier
	global_load_dword v25, v25, s[8:9] offset:56
	ds_read_u16 v26, v6 offset:2016
	ds_read_u16 v27, v6 offset:2240
	ds_read_u16 v28, v6 offset:2464
	ds_read_u16 v29, v6 offset:2688
	ds_read_u16 v30, v6 offset:2912
	ds_read_u16 v31, v6 offset:3136
	ds_read_u16 v32, v6 offset:3360
	ds_read_u16 v33, v6 offset:3584
	ds_read_u16 v48, v6 offset:3808
	s_movk_i32 s0, 0xe0
	v_and_or_b32 v16, v16, s0, v24
	s_movk_i32 s0, 0x1e0
	v_lshl_add_u32 v60, v16, 1, v14
	v_and_or_b32 v17, v17, s0, v24
	s_movk_i32 s0, 0x3e0
	v_and_or_b32 v18, v18, s0, v24
	v_lshl_add_u32 v18, v18, 1, v14
	v_and_or_b32 v19, v19, s0, v24
	v_lshl_add_u32 v19, v19, 1, v14
	s_movk_i32 s0, 0x7e0
	v_and_or_b32 v20, v20, s0, v24
	v_lshl_add_u32 v20, v20, 1, v14
	s_movk_i32 s1, 0x5e0
	v_and_or_b32 v22, v22, s1, v24
	v_lshl_add_u32 v22, v22, 1, v14
	v_and_or_b32 v21, v21, s0, v24
	v_lshl_add_u32 v21, v21, 1, v14
	;; [unrolled: 2-line block ×4, first 2 shown]
	s_movk_i32 s0, 0x60
	v_cmp_gt_u32_e64 s[0:1], s0, v7
	s_waitcnt vmcnt(0) lgkmcnt(8)
	v_mul_f16_sdwa v34, v26, v25 dst_sel:DWORD dst_unused:UNUSED_PAD src0_sel:DWORD src1_sel:WORD_1
	v_mul_f16_sdwa v36, v52, v25 dst_sel:DWORD dst_unused:UNUSED_PAD src0_sel:DWORD src1_sel:WORD_1
	v_fma_f16 v34, v52, v25, -v34
	v_fma_f16 v26, v26, v25, v36
	s_waitcnt lgkmcnt(7)
	v_mul_f16_sdwa v36, v27, v25 dst_sel:DWORD dst_unused:UNUSED_PAD src0_sel:DWORD src1_sel:WORD_1
	v_fma_f16 v36, v56, v25, -v36
	v_mul_f16_sdwa v37, v56, v25 dst_sel:DWORD dst_unused:UNUSED_PAD src0_sel:DWORD src1_sel:WORD_1
	v_mul_f16_sdwa v38, v61, v25 dst_sel:DWORD dst_unused:UNUSED_PAD src0_sel:DWORD src1_sel:WORD_1
	v_mul_f16_sdwa v39, v62, v25 dst_sel:DWORD dst_unused:UNUSED_PAD src0_sel:DWORD src1_sel:WORD_1
	v_mul_f16_sdwa v40, v63, v25 dst_sel:DWORD dst_unused:UNUSED_PAD src0_sel:DWORD src1_sel:WORD_1
	v_mul_f16_sdwa v41, v64, v25 dst_sel:DWORD dst_unused:UNUSED_PAD src0_sel:DWORD src1_sel:WORD_1
	v_mul_f16_sdwa v42, v65, v25 dst_sel:DWORD dst_unused:UNUSED_PAD src0_sel:DWORD src1_sel:WORD_1
	v_mul_f16_sdwa v50, v66, v25 dst_sel:DWORD dst_unused:UNUSED_PAD src0_sel:DWORD src1_sel:WORD_1
	v_sub_f16_e32 v34, v35, v34
	v_fma_f16 v27, v27, v25, v37
	s_waitcnt lgkmcnt(6)
	v_mul_f16_sdwa v37, v28, v25 dst_sel:DWORD dst_unused:UNUSED_PAD src0_sel:DWORD src1_sel:WORD_1
	v_fma_f16 v28, v28, v25, v38
	s_waitcnt lgkmcnt(5)
	v_mul_f16_sdwa v38, v29, v25 dst_sel:DWORD dst_unused:UNUSED_PAD src0_sel:DWORD src1_sel:WORD_1
	;; [unrolled: 3-line block ×6, first 2 shown]
	v_fma_f16 v33, v33, v25, v50
	ds_read_u16 v50, v10
	s_waitcnt lgkmcnt(1)
	v_mul_f16_sdwa v52, v48, v25 dst_sel:DWORD dst_unused:UNUSED_PAD src0_sel:DWORD src1_sel:WORD_1
	v_mul_f16_sdwa v53, v68, v25 dst_sel:DWORD dst_unused:UNUSED_PAD src0_sel:DWORD src1_sel:WORD_1
	v_fma_f16 v35, v35, 2.0, -v34
	v_sub_f16_e32 v16, v43, v36
	v_fma_f16 v37, v61, v25, -v37
	v_fma_f16 v38, v62, v25, -v38
	v_fma_f16 v39, v63, v25, -v39
	v_fma_f16 v40, v64, v25, -v40
	v_fma_f16 v41, v65, v25, -v41
	v_fma_f16 v42, v66, v25, -v42
	v_fma_f16 v52, v68, v25, -v52
	v_fma_f16 v25, v48, v25, v53
	ds_read_u16 v48, v8
	ds_read_u16 v53, v6 offset:224
	ds_read_u16 v54, v6 offset:448
	;; [unrolled: 1-line block ×7, first 2 shown]
	s_waitcnt lgkmcnt(0)
	s_barrier
	ds_write_b16 v60, v35
	ds_write_b16 v60, v34 offset:32
	v_fma_f16 v34, v43, 2.0, -v16
	v_lshl_add_u32 v35, v17, 1, v14
	ds_write_b16 v35, v34
	ds_write_b16 v35, v16 offset:32
	v_sub_f16_e32 v16, v44, v37
	v_fma_f16 v17, v44, 2.0, -v16
	ds_write_b16 v18, v17
	ds_write_b16 v18, v16 offset:32
	v_sub_f16_e32 v16, v45, v38
	v_fma_f16 v17, v45, 2.0, -v16
	;; [unrolled: 4-line block ×6, first 2 shown]
	ds_write_b16 v23, v17
	ds_write_b16 v23, v16 offset:32
	v_sub_f16_e32 v16, v67, v52
	v_sub_f16_e32 v26, v48, v26
	v_fma_f16 v17, v67, 2.0, -v16
	v_fma_f16 v34, v48, 2.0, -v26
	ds_write_b16 v24, v17
	ds_write_b16 v24, v16 offset:32
	s_waitcnt lgkmcnt(0)
	s_barrier
	ds_read_u16 v36, v8
	ds_read_u16 v37, v6 offset:224
	ds_read_u16 v38, v6 offset:448
	;; [unrolled: 1-line block ×15, first 2 shown]
	ds_read_u16 v49, v10
	ds_read_u16 v51, v6 offset:3808
	s_waitcnt lgkmcnt(0)
	s_barrier
	ds_write_b16 v60, v34
	ds_write_b16 v60, v26 offset:32
	v_sub_f16_e32 v26, v53, v27
	v_fma_f16 v27, v53, 2.0, -v26
	ds_write_b16 v35, v27
	ds_write_b16 v35, v26 offset:32
	v_sub_f16_e32 v26, v54, v28
	v_fma_f16 v27, v54, 2.0, -v26
	;; [unrolled: 4-line block ×7, first 2 shown]
	v_sub_f16_e32 v20, v50, v25
	v_fma_f16 v21, v50, 2.0, -v20
	ds_write_b16 v23, v19
	ds_write_b16 v23, v18 offset:32
	ds_write_b16 v24, v21
	ds_write_b16 v24, v20 offset:32
	v_and_b32_e32 v20, 31, v7
	v_lshlrev_b32_e32 v18, 3, v20
	s_waitcnt lgkmcnt(0)
	s_barrier
	global_load_dwordx2 v[18:19], v18, s[8:9] offset:120
	v_and_b32_e32 v23, 31, v11
	v_and_b32_e32 v21, 31, v0
	v_lshlrev_b32_e32 v24, 3, v23
	v_lshlrev_b32_e32 v22, 3, v21
	global_load_dword v25, v24, s[8:9] offset:122
	global_load_dword v26, v24, s[8:9] offset:124
	global_load_ushort v27, v24, s[8:9] offset:126
	global_load_dword v28, v24, s[8:9] offset:120
	global_load_ushort v29, v22, s[8:9] offset:120
	v_and_b32_e32 v22, 31, v13
	v_lshlrev_b32_e32 v24, 3, v22
	global_load_ushort v30, v24, s[8:9] offset:122
	global_load_ushort v31, v24, s[8:9] offset:120
	;; [unrolled: 1-line block ×4, first 2 shown]
	ds_read_u16 v24, v6 offset:1344
	ds_read_u16 v34, v6 offset:1568
	ds_read_u16 v35, v6 offset:1120
	s_waitcnt vmcnt(9) lgkmcnt(2)
	v_mul_f16_sdwa v50, v24, v18 dst_sel:DWORD dst_unused:UNUSED_PAD src0_sel:DWORD src1_sel:WORD_1
	v_fma_f16 v50, v45, v18, -v50
	v_mul_f16_sdwa v45, v45, v18 dst_sel:DWORD dst_unused:UNUSED_PAD src0_sel:DWORD src1_sel:WORD_1
	v_fma_f16 v24, v24, v18, v45
	ds_read_u16 v45, v6 offset:2688
	ds_read_u16 v52, v6 offset:2912
	;; [unrolled: 1-line block ×6, first 2 shown]
	ds_read_u16 v58, v10
	s_waitcnt lgkmcnt(6)
	v_mul_f16_sdwa v57, v45, v19 dst_sel:DWORD dst_unused:UNUSED_PAD src0_sel:DWORD src1_sel:WORD_1
	v_fma_f16 v57, v47, v19, -v57
	v_mul_f16_sdwa v47, v47, v19 dst_sel:DWORD dst_unused:UNUSED_PAD src0_sel:DWORD src1_sel:WORD_1
	v_fma_f16 v45, v45, v19, v47
	ds_read_u16 v47, v6 offset:3808
	ds_read_u16 v60, v6 offset:2240
	s_waitcnt lgkmcnt(2)
	v_mul_f16_sdwa v59, v58, v18 dst_sel:DWORD dst_unused:UNUSED_PAD src0_sel:DWORD src1_sel:WORD_1
	v_fma_f16 v59, v49, v18, -v59
	v_mul_f16_sdwa v49, v49, v18 dst_sel:DWORD dst_unused:UNUSED_PAD src0_sel:DWORD src1_sel:WORD_1
	v_fma_f16 v49, v58, v18, v49
	v_mul_f16_sdwa v58, v53, v19 dst_sel:DWORD dst_unused:UNUSED_PAD src0_sel:DWORD src1_sel:WORD_1
	v_fma_f16 v58, v41, v19, -v58
	v_mul_f16_sdwa v41, v41, v19 dst_sel:DWORD dst_unused:UNUSED_PAD src0_sel:DWORD src1_sel:WORD_1
	v_fma_f16 v41, v53, v19, v41
	ds_read_u16 v53, v6 offset:2016
	s_waitcnt lgkmcnt(1)
	v_mul_f16_sdwa v61, v60, v18 dst_sel:DWORD dst_unused:UNUSED_PAD src0_sel:DWORD src1_sel:WORD_1
	v_fma_f16 v61, v40, v18, -v61
	v_mul_f16_sdwa v40, v40, v18 dst_sel:DWORD dst_unused:UNUSED_PAD src0_sel:DWORD src1_sel:WORD_1
	v_fma_f16 v40, v60, v18, v40
	v_mul_f16_sdwa v18, v54, v19 dst_sel:DWORD dst_unused:UNUSED_PAD src0_sel:DWORD src1_sel:WORD_1
	v_fma_f16 v60, v43, v19, -v18
	v_mul_f16_sdwa v18, v43, v19 dst_sel:DWORD dst_unused:UNUSED_PAD src0_sel:DWORD src1_sel:WORD_1
	v_fma_f16 v43, v54, v19, v18
	s_waitcnt vmcnt(5)
	v_mul_f16_sdwa v18, v34, v28 dst_sel:DWORD dst_unused:UNUSED_PAD src0_sel:DWORD src1_sel:WORD_1
	s_waitcnt vmcnt(4)
	v_fma_f16 v54, v44, v29, -v18
	v_mul_f16_sdwa v18, v44, v28 dst_sel:DWORD dst_unused:UNUSED_PAD src0_sel:DWORD src1_sel:WORD_1
	v_fma_f16 v29, v34, v29, v18
	v_lshrrev_b32_e32 v18, 16, v25
	v_mul_f16_sdwa v19, v52, v26 dst_sel:DWORD dst_unused:UNUSED_PAD src0_sel:DWORD src1_sel:WORD_1
	v_fma_f16 v34, v46, v18, -v19
	v_mul_f16_sdwa v19, v46, v26 dst_sel:DWORD dst_unused:UNUSED_PAD src0_sel:DWORD src1_sel:WORD_1
	v_fma_f16 v44, v52, v18, v19
	s_waitcnt vmcnt(3) lgkmcnt(0)
	v_mul_f16_e32 v18, v53, v30
	s_waitcnt vmcnt(2)
	v_fma_f16 v46, v39, v31, -v18
	v_mul_f16_e32 v18, v39, v30
	v_fma_f16 v30, v53, v31, v18
	s_waitcnt vmcnt(1)
	v_mul_f16_e32 v18, v55, v32
	s_waitcnt vmcnt(0)
	v_fma_f16 v31, v42, v33, -v18
	v_mul_f16_e32 v18, v42, v32
	v_fma_f16 v32, v55, v33, v18
	v_mul_f16_e32 v18, v56, v25
	v_fma_f16 v33, v48, v28, -v18
	v_mul_f16_e32 v18, v48, v25
	v_fma_f16 v25, v56, v28, v18
	v_mul_f16_e32 v18, v47, v27
	v_fma_f16 v28, v51, v26, -v18
	v_mul_f16_e32 v18, v51, v27
	v_fma_f16 v26, v47, v26, v18
	v_add_f16_e32 v18, v50, v57
	v_fma_f16 v18, v18, -0.5, v36
	v_sub_f16_e32 v19, v24, v45
	v_fma_f16 v27, v19, s6, v18
	v_fma_f16 v18, v19, s7, v18
	ds_read_u16 v19, v8
	ds_read_u16 v39, v6 offset:224
	ds_read_u16 v42, v6 offset:448
	;; [unrolled: 1-line block ×4, first 2 shown]
	s_waitcnt lgkmcnt(4)
	v_add_f16_e32 v51, v19, v24
	v_add_f16_e32 v24, v24, v45
	v_fma_f16 v19, v24, -0.5, v19
	v_add_f16_e32 v24, v36, v50
	v_sub_f16_e32 v36, v50, v57
	v_add_f16_e32 v51, v51, v45
	v_fma_f16 v45, v36, s7, v19
	v_fma_f16 v36, v36, s6, v19
	v_add_f16_e32 v19, v54, v34
	v_fma_f16 v19, v19, -0.5, v37
	v_sub_f16_e32 v50, v29, v44
	v_fma_f16 v52, v50, s6, v19
	v_fma_f16 v19, v50, s7, v19
	v_add_f16_e32 v50, v59, v58
	v_fma_f16 v50, v50, -0.5, v38
	v_sub_f16_e32 v53, v49, v41
	;; [unrolled: 5-line block ×3, first 2 shown]
	v_add_f16_e32 v24, v24, v57
	v_fma_f16 v57, v56, s6, v53
	v_fma_f16 v53, v56, s7, v53
	v_add_f16_e32 v56, v61, v60
	v_fma_f16 v56, v56, -0.5, v16
	v_sub_f16_e32 v62, v40, v43
	v_fma_f16 v63, v62, s6, v56
	v_fma_f16 v56, v62, s7, v56
	v_add_f16_e32 v62, v33, v28
	v_fma_f16 v62, v62, -0.5, v15
	v_sub_f16_e32 v64, v25, v26
	v_fma_f16 v65, v64, s6, v62
	v_fma_f16 v62, v64, s7, v62
	v_lshrrev_b32_e32 v64, 5, v7
	v_mul_u32_u24_e32 v64, 0x60, v64
	v_or_b32_e32 v64, v64, v20
	v_lshl_add_u32 v64, v64, 1, v14
	s_waitcnt lgkmcnt(0)
	s_barrier
	ds_write_b16 v64, v24
	ds_write_b16 v64, v27 offset:64
	ds_write_b16 v64, v18 offset:128
	v_lshrrev_b32_e32 v18, 5, v0
	v_mul_u32_u24_e32 v18, 0x60, v18
	v_or_b32_e32 v18, v18, v21
	v_add_f16_e32 v21, v37, v54
	v_add_f16_e32 v21, v21, v34
	v_lshl_add_u32 v24, v18, 1, v14
	ds_write_b16 v24, v21
	ds_write_b16 v24, v52 offset:64
	ds_write_b16 v24, v19 offset:128
	v_lshrrev_b32_e32 v19, 5, v5
	v_mul_u32_u24_e32 v19, 0x60, v19
	v_add_f16_e32 v18, v38, v59
	v_or_b32_e32 v19, v19, v20
	v_add_f16_e32 v18, v18, v58
	v_lshl_add_u32 v21, v19, 1, v14
	ds_write_b16 v21, v18
	ds_write_b16 v21, v55 offset:64
	ds_write_b16 v21, v50 offset:128
	v_lshrrev_b32_e32 v18, 5, v13
	v_mul_u32_u24_e32 v18, 0x60, v18
	v_or_b32_e32 v18, v18, v22
	v_add_f16_e32 v17, v17, v46
	v_add_f16_e32 v17, v17, v31
	v_lshl_add_u32 v22, v18, 1, v14
	ds_write_b16 v22, v17
	ds_write_b16 v22, v57 offset:64
	ds_write_b16 v22, v53 offset:128
	v_lshrrev_b32_e32 v17, 5, v12
	v_mul_u32_u24_e32 v17, 0x60, v17
	v_or_b32_e32 v17, v17, v20
	v_add_f16_e32 v16, v16, v61
	v_add_f16_e32 v16, v16, v60
	v_lshl_add_u32 v20, v17, 1, v14
	ds_write_b16 v20, v16
	ds_write_b16 v20, v63 offset:64
	ds_write_b16 v20, v56 offset:128
	v_lshrrev_b32_e32 v16, 5, v11
	v_mul_u32_u24_e32 v16, 0x60, v16
	v_or_b32_e32 v16, v16, v23
	v_lshl_add_u32 v23, v16, 1, v14
	v_add_f16_e32 v14, v15, v33
	v_add_f16_e32 v27, v39, v29
	;; [unrolled: 1-line block ×5, first 2 shown]
	v_fma_f16 v29, v29, -0.5, v39
	v_sub_f16_e32 v34, v54, v34
	ds_write_b16 v23, v14
	ds_write_b16 v23, v65 offset:64
	ds_write_b16 v23, v62 offset:128
	s_waitcnt lgkmcnt(0)
	s_barrier
	ds_read_u16 v19, v8
	ds_read_u16 v18, v6 offset:224
	ds_read_u16 v16, v6 offset:448
	;; [unrolled: 1-line block ×15, first 2 shown]
	ds_read_u16 v66, v10
	ds_read_u16 v67, v6 offset:3808
	s_waitcnt lgkmcnt(0)
	s_barrier
	ds_write_b16 v64, v51
	ds_write_b16 v64, v45 offset:64
	ds_write_b16 v64, v36 offset:128
	v_fma_f16 v36, v34, s7, v29
	v_fma_f16 v29, v34, s6, v29
	ds_write_b16 v24, v27
	ds_write_b16 v24, v36 offset:64
	ds_write_b16 v24, v29 offset:128
	v_add_f16_e32 v24, v42, v49
	v_add_f16_e32 v27, v49, v41
	;; [unrolled: 1-line block ×3, first 2 shown]
	v_fma_f16 v27, v27, -0.5, v42
	v_sub_f16_e32 v29, v59, v58
	v_fma_f16 v34, v29, s7, v27
	v_fma_f16 v27, v29, s6, v27
	ds_write_b16 v21, v24
	ds_write_b16 v21, v34 offset:64
	ds_write_b16 v21, v27 offset:128
	v_add_f16_e32 v21, v47, v30
	v_add_f16_e32 v24, v30, v32
	;; [unrolled: 1-line block ×3, first 2 shown]
	v_fma_f16 v24, v24, -0.5, v47
	v_sub_f16_e32 v27, v46, v31
	v_fma_f16 v29, v27, s7, v24
	v_fma_f16 v24, v27, s6, v24
	ds_write_b16 v22, v21
	ds_write_b16 v22, v29 offset:64
	ds_write_b16 v22, v24 offset:128
	v_add_f16_e32 v22, v40, v43
	v_fma_f16 v22, v22, -0.5, v48
	v_sub_f16_e32 v24, v61, v60
	v_add_f16_e32 v21, v48, v40
	v_fma_f16 v27, v24, s7, v22
	v_fma_f16 v22, v24, s6, v22
	v_add_f16_e32 v24, v35, v25
	v_add_f16_e32 v25, v25, v26
	;; [unrolled: 1-line block ×4, first 2 shown]
	v_fma_f16 v25, v25, -0.5, v35
	v_sub_f16_e32 v26, v33, v28
	v_fma_f16 v28, v26, s7, v25
	v_fma_f16 v25, v26, s6, v25
	ds_write_b16 v20, v21
	ds_write_b16 v20, v27 offset:64
	ds_write_b16 v20, v22 offset:128
	ds_write_b16 v23, v24
	ds_write_b16 v23, v28 offset:64
	ds_write_b16 v23, v25 offset:128
	v_add_u32_e32 v20, 0xffffffa0, v7
	v_cndmask_b32_e64 v20, v20, v7, s[0:1]
	v_lshlrev_b32_e32 v22, 1, v20
	v_mov_b32_e32 v23, 0
	v_lshlrev_b64 v[20:21], 2, v[22:23]
	v_mov_b32_e32 v23, s9
	v_add_co_u32_e64 v20, s[0:1], s8, v20
	v_addc_co_u32_e64 v21, s[0:1], v23, v21, s[0:1]
	s_movk_i32 s0, 0xab
	s_waitcnt lgkmcnt(0)
	s_barrier
	global_load_dwordx2 v[23:24], v[20:21], off offset:376
	v_mul_lo_u16_sdwa v20, v0, s0 dst_sel:DWORD dst_unused:UNUSED_PAD src0_sel:BYTE_0 src1_sel:DWORD
	v_lshrrev_b16_e32 v29, 14, v20
	v_mul_lo_u16_e32 v20, 0x60, v29
	v_sub_u16_e32 v40, v0, v20
	v_mov_b32_e32 v20, 3
	v_lshlrev_b32_sdwa v20, v20, v40 dst_sel:DWORD dst_unused:UNUSED_PAD src0_sel:DWORD src1_sel:BYTE_0
	s_mov_b32 s0, 0xaaab
	global_load_dwordx2 v[25:26], v20, s[8:9] offset:376
	v_mul_u32_u24_sdwa v20, v5, s0 dst_sel:DWORD dst_unused:UNUSED_PAD src0_sel:WORD_0 src1_sel:DWORD
	v_lshrrev_b32_e32 v59, 22, v20
	v_mul_lo_u16_e32 v20, 0x60, v59
	v_sub_u16_e32 v60, v5, v20
	v_lshlrev_b32_e32 v20, 3, v60
	global_load_dwordx2 v[27:28], v20, s[8:9] offset:376
	v_mul_u32_u24_sdwa v20, v13, s0 dst_sel:DWORD dst_unused:UNUSED_PAD src0_sel:WORD_0 src1_sel:DWORD
	v_lshrrev_b32_e32 v61, 22, v20
	v_mul_lo_u16_e32 v20, 0x60, v61
	v_sub_u16_e32 v68, v13, v20
	v_lshlrev_b32_e32 v13, 3, v68
	;; [unrolled: 6-line block ×3, first 2 shown]
	v_mul_u32_u24_sdwa v20, v11, s0 dst_sel:DWORD dst_unused:UNUSED_PAD src0_sel:WORD_0 src1_sel:DWORD
	global_load_dwordx2 v[12:13], v12, s[8:9] offset:376
	v_lshrrev_b32_e32 v71, 22, v20
	v_mul_lo_u16_e32 v20, 0x60, v71
	v_sub_u16_e32 v11, v11, v20
	v_lshlrev_b32_e32 v20, 3, v11
	global_load_dwordx2 v[36:37], v20, s[8:9] offset:376
	ds_read_u16 v30, v6 offset:1344
	ds_read_u16 v35, v6 offset:1568
	;; [unrolled: 1-line block ×3, first 2 shown]
	s_movk_i32 s0, 0x5f
	v_cmp_lt_u32_e64 s[0:1], s0, v7
	s_waitcnt vmcnt(5) lgkmcnt(2)
	v_mul_f16_sdwa v21, v30, v23 dst_sel:DWORD dst_unused:UNUSED_PAD src0_sel:DWORD src1_sel:WORD_1
	v_mul_f16_sdwa v31, v56, v23 dst_sel:DWORD dst_unused:UNUSED_PAD src0_sel:DWORD src1_sel:WORD_1
	v_fma_f16 v21, v56, v23, -v21
	v_fma_f16 v30, v30, v23, v31
	ds_read_u16 v23, v6 offset:2688
	ds_read_u16 v41, v6 offset:2912
	;; [unrolled: 1-line block ×8, first 2 shown]
	s_waitcnt lgkmcnt(7)
	v_mul_f16_sdwa v31, v23, v24 dst_sel:DWORD dst_unused:UNUSED_PAD src0_sel:DWORD src1_sel:WORD_1
	v_fma_f16 v32, v63, v24, -v31
	v_mul_f16_sdwa v31, v63, v24 dst_sel:DWORD dst_unused:UNUSED_PAD src0_sel:DWORD src1_sel:WORD_1
	ds_read_u16 v10, v10
	v_fma_f16 v45, v23, v24, v31
	s_waitcnt vmcnt(4)
	v_mul_f16_sdwa v23, v35, v25 dst_sel:DWORD dst_unused:UNUSED_PAD src0_sel:DWORD src1_sel:WORD_1
	v_fma_f16 v31, v50, v25, -v23
	v_mul_f16_sdwa v23, v50, v25 dst_sel:DWORD dst_unused:UNUSED_PAD src0_sel:DWORD src1_sel:WORD_1
	v_fma_f16 v39, v35, v25, v23
	s_waitcnt lgkmcnt(7)
	v_mul_f16_sdwa v23, v41, v26 dst_sel:DWORD dst_unused:UNUSED_PAD src0_sel:DWORD src1_sel:WORD_1
	v_fma_f16 v42, v57, v26, -v23
	v_mul_f16_sdwa v23, v57, v26 dst_sel:DWORD dst_unused:UNUSED_PAD src0_sel:DWORD src1_sel:WORD_1
	v_fma_f16 v50, v41, v26, v23
	ds_read_u16 v23, v6 offset:3808
	s_waitcnt vmcnt(3) lgkmcnt(1)
	v_mul_f16_sdwa v24, v10, v27 dst_sel:DWORD dst_unused:UNUSED_PAD src0_sel:DWORD src1_sel:WORD_1
	v_fma_f16 v35, v66, v27, -v24
	v_mul_f16_sdwa v24, v66, v27 dst_sel:DWORD dst_unused:UNUSED_PAD src0_sel:DWORD src1_sel:WORD_1
	v_fma_f16 v46, v10, v27, v24
	v_mul_f16_sdwa v10, v43, v28 dst_sel:DWORD dst_unused:UNUSED_PAD src0_sel:DWORD src1_sel:WORD_1
	v_fma_f16 v47, v53, v28, -v10
	v_mul_f16_sdwa v10, v53, v28 dst_sel:DWORD dst_unused:UNUSED_PAD src0_sel:DWORD src1_sel:WORD_1
	v_fma_f16 v56, v43, v28, v10
	s_waitcnt vmcnt(2)
	v_mul_f16_sdwa v10, v48, v33 dst_sel:DWORD dst_unused:UNUSED_PAD src0_sel:DWORD src1_sel:WORD_1
	v_fma_f16 v41, v38, v33, -v10
	v_mul_f16_sdwa v10, v38, v33 dst_sel:DWORD dst_unused:UNUSED_PAD src0_sel:DWORD src1_sel:WORD_1
	v_fma_f16 v48, v48, v33, v10
	v_mul_f16_sdwa v10, v44, v34 dst_sel:DWORD dst_unused:UNUSED_PAD src0_sel:DWORD src1_sel:WORD_1
	v_fma_f16 v49, v55, v34, -v10
	v_mul_f16_sdwa v10, v55, v34 dst_sel:DWORD dst_unused:UNUSED_PAD src0_sel:DWORD src1_sel:WORD_1
	v_fma_f16 v57, v44, v34, v10
	s_waitcnt vmcnt(1)
	;; [unrolled: 9-line block ×3, first 2 shown]
	v_mul_f16_sdwa v10, v58, v36 dst_sel:DWORD dst_unused:UNUSED_PAD src0_sel:DWORD src1_sel:WORD_1
	v_fma_f16 v44, v65, v36, -v10
	v_mul_f16_sdwa v10, v65, v36 dst_sel:DWORD dst_unused:UNUSED_PAD src0_sel:DWORD src1_sel:WORD_1
	v_fma_f16 v53, v58, v36, v10
	s_waitcnt lgkmcnt(0)
	v_mul_f16_sdwa v10, v23, v37 dst_sel:DWORD dst_unused:UNUSED_PAD src0_sel:DWORD src1_sel:WORD_1
	v_fma_f16 v54, v67, v37, -v10
	v_mul_f16_sdwa v10, v67, v37 dst_sel:DWORD dst_unused:UNUSED_PAD src0_sel:DWORD src1_sel:WORD_1
	v_fma_f16 v64, v23, v37, v10
	v_mov_b32_e32 v10, 0x240
	v_cndmask_b32_e64 v10, 0, v10, s[0:1]
	v_add_u32_e32 v10, 0, v10
	v_add3_u32 v55, v10, v22, v9
	v_mov_b32_e32 v10, 1
	s_movk_i32 s0, 0x240
	v_lshlrev_b32_sdwa v10, v10, v40 dst_sel:DWORD dst_unused:UNUSED_PAD src0_sel:DWORD src1_sel:BYTE_0
	v_mad_u32_u24 v12, v29, s0, 0
	v_add3_u32 v58, v12, v10, v9
	v_lshlrev_b32_e32 v10, 1, v60
	v_mad_u32_u24 v12, v59, s0, 0
	v_add3_u32 v59, v12, v10, v9
	v_lshlrev_b32_e32 v10, 1, v68
	;; [unrolled: 3-line block ×4, first 2 shown]
	v_mad_u32_u24 v11, v71, s0, 0
	v_add3_u32 v62, v11, v10, v9
	v_add_f16_e32 v9, v21, v32
	v_fma_f16 v9, v9, -0.5, v19
	v_sub_f16_e32 v10, v30, v45
	v_fma_f16 v12, v10, s6, v9
	v_fma_f16 v13, v10, s7, v9
	v_add_f16_e32 v9, v31, v42
	v_fma_f16 v9, v9, -0.5, v18
	v_sub_f16_e32 v10, v39, v50
	v_fma_f16 v22, v10, s6, v9
	v_fma_f16 v23, v10, s7, v9
	;; [unrolled: 5-line block ×5, first 2 shown]
	v_add_f16_e32 v10, v44, v54
	v_fma_f16 v11, v10, -0.5, v17
	v_sub_f16_e32 v29, v53, v64
	v_add_f16_e32 v19, v19, v21
	v_fma_f16 v10, v29, s6, v11
	v_fma_f16 v11, v29, s7, v11
	v_add_f16_e32 v29, v19, v32
	ds_read_u16 v68, v8
	ds_read_u16 v67, v6 offset:224
	ds_read_u16 v66, v6 offset:448
	;; [unrolled: 1-line block ×4, first 2 shown]
	s_waitcnt lgkmcnt(0)
	s_barrier
	ds_write_b16 v55, v29
	ds_write_b16 v55, v12 offset:192
	ds_write_b16 v55, v13 offset:384
	v_add_f16_e32 v12, v18, v31
	v_add_f16_e32 v12, v12, v42
	ds_write_b16 v58, v12
	ds_write_b16 v58, v22 offset:192
	ds_write_b16 v58, v23 offset:384
	v_add_f16_e32 v12, v16, v35
	v_add_f16_e32 v12, v12, v47
	ds_write_b16 v59, v12
	ds_write_b16 v59, v24 offset:192
	ds_write_b16 v59, v25 offset:384
	v_add_f16_e32 v12, v15, v41
	v_add_f16_e32 v12, v12, v49
	ds_write_b16 v60, v12
	ds_write_b16 v60, v26 offset:192
	ds_write_b16 v60, v27 offset:384
	v_add_f16_e32 v12, v14, v43
	v_add_f16_e32 v12, v12, v52
	ds_write_b16 v61, v12
	ds_write_b16 v61, v28 offset:192
	v_add_f16_e32 v12, v17, v44
	v_add_f16_e32 v12, v12, v54
	ds_write_b16 v61, v9 offset:384
	ds_write_b16 v62, v12
	ds_write_b16 v62, v10 offset:192
	ds_write_b16 v62, v11 offset:384
	s_waitcnt lgkmcnt(0)
	s_barrier
	ds_read_u16 v22, v8
	ds_read_u16 v24, v6 offset:2304
	ds_read_u16 v33, v6 offset:1952
	;; [unrolled: 1-line block ×13, first 2 shown]
	v_cmp_gt_u32_e64 s[0:1], 64, v7
                                        ; implicit-def: $vgpr14
                                        ; implicit-def: $vgpr13
                                        ; implicit-def: $vgpr15
	s_and_saveexec_b64 s[4:5], s[0:1]
	s_cbranch_execz .LBB0_15
; %bb.14:
	ds_read_u16 v9, v6 offset:448
	ds_read_u16 v12, v6 offset:1024
	ds_read_u16 v10, v6 offset:1600
	ds_read_u16 v11, v6 offset:2176
	ds_read_u16 v14, v6 offset:2752
	ds_read_u16 v15, v6 offset:3328
	ds_read_u16 v13, v6 offset:3904
.LBB0_15:
	s_or_b64 exec, exec, s[4:5]
	v_add_f16_e32 v16, v68, v30
	v_add_f16_e32 v69, v16, v45
	v_add_f16_e32 v16, v30, v45
	v_fma_f16 v16, v16, -0.5, v68
	v_sub_f16_e32 v17, v21, v32
	v_fma_f16 v21, v17, s7, v16
	v_fma_f16 v30, v17, s6, v16
	v_add_f16_e32 v16, v67, v39
	v_add_f16_e32 v32, v16, v50
	v_add_f16_e32 v16, v39, v50
	v_fma_f16 v16, v16, -0.5, v67
	v_sub_f16_e32 v17, v31, v42
	v_fma_f16 v31, v17, s7, v16
	v_fma_f16 v39, v17, s6, v16
	;; [unrolled: 7-line block ×4, first 2 shown]
	v_add_f16_e32 v16, v19, v51
	v_add_f16_e32 v48, v16, v63
	;; [unrolled: 1-line block ×3, first 2 shown]
	v_fma_f16 v16, v16, -0.5, v19
	v_sub_f16_e32 v17, v43, v52
	v_add_f16_e32 v18, v53, v64
	v_fma_f16 v43, v17, s7, v16
	v_fma_f16 v16, v17, s6, v16
	v_add_f16_e32 v17, v20, v53
	v_fma_f16 v19, v18, -0.5, v20
	v_sub_f16_e32 v20, v44, v54
	v_add_f16_e32 v17, v17, v64
	v_fma_f16 v18, v20, s7, v19
	v_fma_f16 v19, v20, s6, v19
	s_waitcnt lgkmcnt(0)
	s_barrier
	ds_write_b16 v55, v69
	ds_write_b16 v55, v21 offset:192
	ds_write_b16 v55, v30 offset:384
	ds_write_b16 v58, v32
	ds_write_b16 v58, v31 offset:192
	ds_write_b16 v58, v39 offset:384
	;; [unrolled: 3-line block ×6, first 2 shown]
	s_waitcnt lgkmcnt(0)
	s_barrier
	ds_read_u16 v30, v8
	ds_read_u16 v31, v6 offset:2304
	ds_read_u16 v45, v6 offset:1952
	;; [unrolled: 1-line block ×13, first 2 shown]
                                        ; implicit-def: $vgpr20
                                        ; implicit-def: $vgpr8
                                        ; implicit-def: $vgpr21
	s_and_saveexec_b64 s[4:5], s[0:1]
	s_cbranch_execz .LBB0_17
; %bb.16:
	ds_read_u16 v16, v6 offset:448
	ds_read_u16 v17, v6 offset:1024
	;; [unrolled: 1-line block ×7, first 2 shown]
.LBB0_17:
	s_or_b64 exec, exec, s[4:5]
	s_and_saveexec_b64 s[4:5], vcc
	s_cbranch_execz .LBB0_20
; %bb.18:
	v_mul_u32_u24_e32 v0, 6, v0
	v_lshlrev_b32_e32 v0, 2, v0
	global_load_dwordx4 v[50:53], v0, s[8:9] offset:1144
	global_load_dwordx2 v[58:59], v0, s[8:9] offset:1160
	v_mul_u32_u24_e32 v54, 6, v7
	v_lshlrev_b32_e32 v62, 2, v54
	global_load_dwordx4 v[54:57], v62, s[8:9] offset:1144
	global_load_dwordx2 v[60:61], v62, s[8:9] offset:1160
	v_mul_lo_u32 v0, s3, v3
	v_mul_lo_u32 v6, s2, v4
	v_mad_u64_u32 v[3:4], s[2:3], s2, v3, 0
	s_movk_i32 s3, 0x3574
	s_mov_b32 s4, 0xbcab
	v_add3_u32 v4, v4, v6, v0
	s_movk_i32 s6, 0x3b00
	s_mov_b32 s7, 0xb574
	s_mov_b32 s10, 0xb9e0
	s_movk_i32 s11, 0x39e0
	s_movk_i32 s2, 0x370e
	;; [unrolled: 1-line block ×3, first 2 shown]
	v_lshlrev_b64 v[3:4], 2, v[3:4]
	s_movk_i32 s13, 0x120
	v_add_co_u32_e32 v3, vcc, s14, v3
	s_movk_i32 s14, 0x1000
	s_movk_i32 s5, 0x2b26
	s_waitcnt vmcnt(3) lgkmcnt(7)
	v_mul_f16_sdwa v0, v46, v50 dst_sel:DWORD dst_unused:UNUSED_PAD src0_sel:DWORD src1_sel:WORD_1
	s_waitcnt vmcnt(2) lgkmcnt(4)
	v_mul_f16_sdwa v6, v48, v59 dst_sel:DWORD dst_unused:UNUSED_PAD src0_sel:DWORD src1_sel:WORD_1
	s_waitcnt lgkmcnt(0)
	v_mul_f16_sdwa v62, v49, v53 dst_sel:DWORD dst_unused:UNUSED_PAD src0_sel:DWORD src1_sel:WORD_1
	v_mul_f16_sdwa v63, v45, v52 dst_sel:DWORD dst_unused:UNUSED_PAD src0_sel:DWORD src1_sel:WORD_1
	;; [unrolled: 1-line block ×10, first 2 shown]
	v_fma_f16 v0, v36, v50, -v0
	v_fma_f16 v6, v38, v59, -v6
	;; [unrolled: 1-line block ×6, first 2 shown]
	v_fma_f16 v38, v48, v59, v66
	v_fma_f16 v40, v46, v50, v67
	;; [unrolled: 1-line block ×6, first 2 shown]
	v_sub_f16_e32 v48, v0, v6
	v_sub_f16_e32 v49, v36, v33
	v_add_f16_e32 v51, v40, v38
	v_add_f16_e32 v53, v44, v47
	;; [unrolled: 1-line block ×5, first 2 shown]
	v_sub_f16_e32 v50, v34, v37
	v_add_f16_e32 v52, v46, v45
	v_sub_f16_e32 v34, v40, v38
	v_sub_f16_e32 v36, v46, v45
	;; [unrolled: 1-line block ×3, first 2 shown]
	v_add_f16_e32 v47, v51, v53
	v_add_f16_e32 v59, v0, v33
	v_sub_f16_e32 v38, v48, v49
	v_sub_f16_e32 v40, v49, v50
	v_add_f16_e32 v44, v49, v50
	v_sub_f16_e32 v45, v51, v52
	v_sub_f16_e32 v49, v0, v6
	;; [unrolled: 1-line block ×5, first 2 shown]
	v_add_f16_e32 v36, v36, v37
	v_sub_f16_e32 v50, v50, v48
	v_add_f16_e32 v47, v52, v47
	v_add_f16_e32 v6, v6, v59
	v_sub_f16_e32 v46, v52, v53
	v_mul_f16_e32 v40, 0xb846, v40
	v_add_f16_e32 v44, v48, v44
	v_mul_f16_e32 v48, 0x3a52, v45
	v_mul_f16_e32 v52, 0x3a52, v49
	;; [unrolled: 1-line block ×4, first 2 shown]
	v_add_f16_e32 v36, v34, v36
	v_add_f16_e32 v43, v43, v47
	v_add_f16_e32 v29, v29, v6
	v_mul_f16_e32 v67, 0x3b00, v50
	v_sub_f16_e32 v51, v53, v51
	v_sub_f16_e32 v0, v33, v0
	;; [unrolled: 1-line block ×3, first 2 shown]
	v_mul_f16_e32 v46, 0x2b26, v46
	v_fma_f16 v63, v38, s3, v40
	v_fma_f16 v47, v47, s4, v43
	;; [unrolled: 1-line block ×3, first 2 shown]
	v_fma_f16 v38, v38, s7, -v67
	v_fma_f16 v48, v51, s10, -v48
	;; [unrolled: 1-line block ×3, first 2 shown]
	v_mul_f16_e32 v37, 0x3b00, v34
	v_fma_f16 v34, v34, s6, -v59
	v_fma_f16 v0, v0, s11, -v58
	v_fma_f16 v45, v45, s12, v46
	v_fma_f16 v49, v49, s12, v58
	;; [unrolled: 1-line block ×4, first 2 shown]
	v_add_f16_e32 v48, v48, v47
	v_fma_f16 v37, v62, s7, -v37
	v_fma_f16 v46, v51, s11, -v46
	v_fma_f16 v34, v36, s2, v34
	v_add_f16_e32 v0, v0, v6
	v_fma_f16 v64, v36, s2, v64
	v_add_f16_e32 v45, v45, v47
	v_add_f16_e32 v49, v49, v6
	;; [unrolled: 1-line block ×4, first 2 shown]
	v_fma_f16 v37, v36, s2, v37
	v_add_f16_e32 v46, v46, v47
	v_fma_f16 v40, v50, s6, -v40
	v_add_f16_e32 v36, v34, v0
	v_sub_f16_e32 v34, v0, v34
	v_sub_f16_e32 v38, v48, v38
	s_waitcnt vmcnt(1)
	v_mul_f16_sdwa v0, v41, v54 dst_sel:DWORD dst_unused:UNUSED_PAD src0_sel:DWORD src1_sel:WORD_1
	s_waitcnt vmcnt(0)
	v_mul_f16_sdwa v6, v42, v61 dst_sel:DWORD dst_unused:UNUSED_PAD src0_sel:DWORD src1_sel:WORD_1
	v_mul_f16_sdwa v47, v31, v57 dst_sel:DWORD dst_unused:UNUSED_PAD src0_sel:DWORD src1_sel:WORD_1
	;; [unrolled: 1-line block ×5, first 2 shown]
	v_fma_f16 v40, v44, s2, v40
	v_fma_f16 v0, v27, v54, -v0
	v_fma_f16 v6, v28, v61, -v6
	;; [unrolled: 1-line block ×6, first 2 shown]
	v_mul_f16_sdwa v25, v25, v56 dst_sel:DWORD dst_unused:UNUSED_PAD src0_sel:DWORD src1_sel:WORD_1
	v_mul_f16_sdwa v24, v24, v57 dst_sel:DWORD dst_unused:UNUSED_PAD src0_sel:DWORD src1_sel:WORD_1
	;; [unrolled: 1-line block ×4, first 2 shown]
	v_fma_f16 v63, v44, s2, v63
	v_sub_f16_e32 v44, v46, v40
	v_add_f16_e32 v40, v40, v46
	v_sub_f16_e32 v46, v0, v6
	v_sub_f16_e32 v59, v51, v58
	v_mul_f16_sdwa v28, v28, v61 dst_sel:DWORD dst_unused:UNUSED_PAD src0_sel:DWORD src1_sel:WORD_1
	v_mul_f16_sdwa v27, v27, v54 dst_sel:DWORD dst_unused:UNUSED_PAD src0_sel:DWORD src1_sel:WORD_1
	v_fma_f16 v25, v35, v56, v25
	v_fma_f16 v24, v31, v57, v24
	;; [unrolled: 1-line block ×4, first 2 shown]
	v_add_f16_e32 v0, v0, v6
	v_add_f16_e32 v51, v51, v58
	v_fma_f16 v28, v42, v61, v28
	v_fma_f16 v27, v41, v54, v27
	v_add_f16_e32 v31, v24, v25
	v_add_f16_e32 v32, v23, v26
	;; [unrolled: 1-line block ×4, first 2 shown]
	v_sub_f16_e32 v24, v24, v25
	v_sub_f16_e32 v23, v23, v26
	v_add_f16_e32 v65, v63, v45
	v_sub_f16_e32 v66, v49, v64
	v_sub_f16_e32 v52, v33, v37
	v_add_f16_e32 v33, v37, v33
	v_sub_f16_e32 v37, v45, v63
	v_add_f16_e32 v45, v64, v49
	;; [unrolled: 2-line block ×3, first 2 shown]
	v_sub_f16_e32 v47, v0, v6
	v_sub_f16_e32 v55, v6, v51
	v_add_f16_e32 v6, v6, v56
	v_sub_f16_e32 v27, v27, v28
	v_sub_f16_e32 v26, v24, v23
	;; [unrolled: 1-line block ×3, first 2 shown]
	v_mul_f16_e32 v48, 0x3a52, v47
	v_mul_f16_e32 v55, 0x2b26, v55
	v_add_f16_e32 v22, v22, v6
	v_sub_f16_e32 v25, v27, v24
	v_mul_f16_e32 v26, 0xb846, v26
	v_add_f16_e32 v24, v24, v23
	v_sub_f16_e32 v0, v51, v0
	v_sub_f16_e32 v23, v23, v27
	;; [unrolled: 1-line block ×3, first 2 shown]
	v_mul_f16_e32 v39, 0x2b26, v39
	v_fma_f16 v6, v6, s4, v22
	v_add_f16_e32 v24, v27, v24
	v_fma_f16 v48, v0, s10, -v48
	v_mul_f16_e32 v27, 0x3b00, v23
	v_fma_f16 v23, v23, s6, -v26
	v_fma_f16 v0, v0, s11, -v55
	v_mul_f16_e32 v42, 0x3a52, v35
	v_fma_f16 v35, v35, s12, v39
	v_fma_f16 v47, v47, s12, v55
	;; [unrolled: 1-line block ×3, first 2 shown]
	v_fma_f16 v25, v25, s7, -v27
	v_fma_f16 v23, v24, s2, v23
	v_add_f16_e32 v0, v0, v6
	s_mov_b32 s12, 0x38e38e39
	v_add_f16_e32 v54, v41, v32
	v_fma_f16 v28, v24, s2, v28
	v_fma_f16 v25, v24, s2, v25
	v_add_f16_e32 v24, v23, v0
	v_sub_f16_e32 v23, v0, v23
	v_mul_hi_u32 v0, v7, s12
	v_add_f16_e32 v31, v31, v54
	v_sub_f16_e32 v50, v46, v49
	v_sub_f16_e32 v62, v49, v59
	v_add_f16_e32 v49, v49, v59
	v_add_f16_e32 v30, v30, v31
	v_sub_f16_e32 v32, v32, v41
	v_mul_f16_e32 v62, 0xb846, v62
	v_add_f16_e32 v49, v46, v49
	v_fma_f16 v31, v31, s4, v30
	v_sub_f16_e32 v46, v59, v46
	v_fma_f16 v41, v32, s10, -v42
	v_fma_f16 v32, v32, s11, -v39
	v_fma_f16 v63, v50, s3, v62
	v_add_f16_e32 v35, v35, v31
	v_add_f16_e32 v41, v41, v31
	;; [unrolled: 1-line block ×3, first 2 shown]
	v_fma_f16 v32, v46, s6, -v62
	v_lshrrev_b32_e32 v0, 6, v0
	v_fma_f16 v63, v49, s2, v63
	v_fma_f16 v32, v49, s2, v32
	v_mul_u32_u24_e32 v0, 0x120, v0
	v_add_f16_e32 v54, v63, v35
	v_sub_f16_e32 v39, v31, v32
	v_add_f16_e32 v26, v32, v31
	v_sub_f16_e32 v32, v35, v63
	v_sub_u32_e32 v35, v7, v0
	v_mov_b32_e32 v0, s15
	v_add_f16_e32 v47, v47, v6
	v_add_f16_e32 v48, v48, v6
	v_addc_co_u32_e32 v6, vcc, v0, v4, vcc
	v_lshlrev_b64 v[0:1], 2, v[1:2]
	v_mul_f16_e32 v57, 0x3b00, v46
	v_add_co_u32_e32 v4, vcc, v3, v0
	v_addc_co_u32_e32 v6, vcc, v6, v1, vcc
	v_lshlrev_b32_e32 v0, 2, v35
	v_fma_f16 v50, v50, s7, -v57
	v_add_co_u32_e32 v2, vcc, v4, v0
	v_sub_f16_e32 v56, v47, v28
	v_fma_f16 v50, v49, s2, v50
	v_add_f16_e32 v28, v28, v47
	v_addc_co_u32_e32 v3, vcc, 0, v6, vcc
	v_pack_b32_f16 v0, v22, v30
	v_sub_f16_e32 v27, v48, v25
	v_sub_f16_e32 v31, v41, v50
	v_add_f16_e32 v25, v25, v48
	global_store_dword v[2:3], v0, off
	v_pack_b32_f16 v0, v28, v32
	global_store_dword v[2:3], v0, off offset:1152
	v_pack_b32_f16 v0, v25, v31
	global_store_dword v[2:3], v0, off offset:2304
	v_pack_b32_f16 v0, v23, v26
	v_add_u32_e32 v22, 0x70, v7
	global_store_dword v[2:3], v0, off offset:3456
	v_add_co_u32_e32 v2, vcc, s14, v2
	v_mul_hi_u32 v23, v22, s12
	v_add_f16_e32 v42, v50, v41
	v_pack_b32_f16 v0, v24, v39
	v_addc_co_u32_e32 v3, vcc, 0, v3, vcc
	global_store_dword v[2:3], v0, off offset:512
	v_pack_b32_f16 v0, v27, v42
	global_store_dword v[2:3], v0, off offset:1664
	v_pack_b32_f16 v0, v56, v54
	global_store_dword v[2:3], v0, off offset:2816
	v_lshrrev_b32_e32 v0, 6, v23
	v_mul_u32_u24_e32 v2, 0x120, v0
	v_sub_u32_e32 v2, v22, v2
	s_movk_i32 s12, 0x7e0
	v_mov_b32_e32 v1, 0
	v_mad_u32_u24 v0, v0, s12, v2
	v_lshlrev_b64 v[2:3], 2, v[0:1]
	v_pack_b32_f16 v22, v29, v43
	v_add_co_u32_e32 v2, vcc, v4, v2
	v_addc_co_u32_e32 v3, vcc, v6, v3, vcc
	global_store_dword v[2:3], v22, off
	v_add_u32_e32 v2, 0x120, v0
	v_mov_b32_e32 v3, v1
	v_lshlrev_b64 v[2:3], 2, v[2:3]
	v_pack_b32_f16 v22, v45, v37
	v_add_co_u32_e32 v2, vcc, v4, v2
	v_addc_co_u32_e32 v3, vcc, v6, v3, vcc
	global_store_dword v[2:3], v22, off
	v_add_u32_e32 v2, 0x240, v0
	v_mov_b32_e32 v3, v1
	;; [unrolled: 7-line block ×5, first 2 shown]
	v_lshlrev_b64 v[2:3], 2, v[2:3]
	v_pack_b32_f16 v22, v52, v53
	v_add_co_u32_e32 v2, vcc, v4, v2
	v_addc_co_u32_e32 v3, vcc, v6, v3, vcc
	v_add_u32_e32 v0, 0x6c0, v0
	global_store_dword v[2:3], v22, off
	v_lshlrev_b64 v[2:3], 2, v[0:1]
	v_pack_b32_f16 v0, v66, v65
	v_add_co_u32_e32 v2, vcc, v4, v2
	v_addc_co_u32_e32 v3, vcc, v6, v3, vcc
	global_store_dword v[2:3], v0, off
	v_add_u32_e32 v2, 0xe0, v7
	v_cmp_gt_u32_e32 vcc, s13, v2
	s_and_b64 exec, exec, vcc
	s_cbranch_execz .LBB0_20
; %bb.19:
	v_subrev_u32_e32 v0, 64, v7
	v_cndmask_b32_e64 v0, v0, v5, s[0:1]
	v_mul_i32_i24_e32 v0, 6, v0
	v_lshlrev_b64 v[22:23], 2, v[0:1]
	v_mov_b32_e32 v0, s9
	v_add_co_u32_e32 v26, vcc, s8, v22
	v_addc_co_u32_e32 v27, vcc, v0, v23, vcc
	global_load_dwordx4 v[22:25], v[26:27], off offset:1144
	global_load_dwordx2 v[28:29], v[26:27], off offset:1160
	s_waitcnt vmcnt(1)
	v_mul_f16_sdwa v0, v17, v22 dst_sel:DWORD dst_unused:UNUSED_PAD src0_sel:DWORD src1_sel:WORD_1
	v_mul_f16_sdwa v3, v12, v22 dst_sel:DWORD dst_unused:UNUSED_PAD src0_sel:DWORD src1_sel:WORD_1
	;; [unrolled: 1-line block ×4, first 2 shown]
	s_waitcnt vmcnt(0)
	v_mul_f16_sdwa v33, v21, v28 dst_sel:DWORD dst_unused:UNUSED_PAD src0_sel:DWORD src1_sel:WORD_1
	v_mul_f16_sdwa v34, v15, v28 dst_sel:DWORD dst_unused:UNUSED_PAD src0_sel:DWORD src1_sel:WORD_1
	;; [unrolled: 1-line block ×8, first 2 shown]
	v_fma_f16 v0, v12, v22, -v0
	v_fma_f16 v3, v17, v22, v3
	v_fma_f16 v5, v10, v23, -v5
	v_fma_f16 v10, v18, v23, v26
	;; [unrolled: 2-line block ×6, first 2 shown]
	v_add_f16_e32 v19, v0, v13
	v_add_f16_e32 v20, v3, v8
	v_sub_f16_e32 v0, v0, v13
	v_sub_f16_e32 v3, v3, v8
	v_add_f16_e32 v8, v5, v15
	v_add_f16_e32 v13, v10, v18
	v_sub_f16_e32 v5, v5, v15
	v_sub_f16_e32 v10, v10, v18
	;; [unrolled: 4-line block ×4, first 2 shown]
	v_sub_f16_e32 v19, v19, v15
	v_sub_f16_e32 v20, v20, v18
	;; [unrolled: 1-line block ×4, first 2 shown]
	v_add_f16_e32 v24, v12, v10
	v_sub_f16_e32 v26, v12, v10
	v_sub_f16_e32 v10, v10, v3
	v_add_f16_e32 v14, v15, v14
	v_add_f16_e32 v15, v18, v17
	;; [unrolled: 1-line block ×3, first 2 shown]
	v_sub_f16_e32 v25, v11, v5
	v_sub_f16_e32 v12, v3, v12
	v_add_f16_e32 v3, v24, v3
	v_mul_f16_e32 v17, 0x3a52, v19
	v_mul_f16_e32 v18, 0x3a52, v20
	;; [unrolled: 1-line block ×6, first 2 shown]
	v_add_f16_e32 v9, v9, v14
	v_add_f16_e32 v16, v16, v15
	v_sub_f16_e32 v11, v0, v11
	v_sub_f16_e32 v5, v5, v0
	v_add_f16_e32 v0, v23, v0
	v_mul_f16_e32 v23, 0xb846, v25
	v_fma_f16 v8, v8, s5, v17
	v_fma_f16 v13, v13, s5, v18
	v_fma_f16 v19, v21, s11, -v19
	v_fma_f16 v20, v22, s11, -v20
	;; [unrolled: 1-line block ×4, first 2 shown]
	v_fma_f16 v22, v12, s3, v24
	v_fma_f16 v10, v10, s6, -v24
	v_fma_f16 v12, v12, s7, -v26
	v_fma_f16 v14, v14, s4, v9
	v_fma_f16 v15, v15, s4, v16
	;; [unrolled: 1-line block ×3, first 2 shown]
	v_add_f16_e32 v8, v8, v14
	v_add_f16_e32 v13, v13, v15
	;; [unrolled: 1-line block ×6, first 2 shown]
	v_fma_f16 v18, v3, s2, v22
	v_fma_f16 v10, v3, s2, v10
	;; [unrolled: 1-line block ×4, first 2 shown]
	v_add_f16_e32 v21, v3, v14
	v_sub_f16_e32 v14, v14, v3
	v_mov_b32_e32 v3, v1
	v_mul_f16_e32 v25, 0x3b00, v5
	v_lshlrev_b64 v[2:3], 2, v[2:3]
	v_fma_f16 v5, v5, s6, -v23
	v_fma_f16 v11, v11, s7, -v25
	v_fma_f16 v5, v0, s2, v5
	v_fma_f16 v0, v0, s2, v11
	v_add_co_u32_e32 v2, vcc, v4, v2
	v_sub_f16_e32 v22, v15, v0
	v_add_f16_e32 v15, v0, v15
	v_addc_co_u32_e32 v3, vcc, v6, v3, vcc
	v_pack_b32_f16 v0, v9, v16
	global_store_dword v[2:3], v0, off
	v_add_u32_e32 v0, 0x200, v7
	v_lshlrev_b64 v[2:3], 2, v[0:1]
	v_add_f16_e32 v11, v18, v8
	v_sub_f16_e32 v12, v13, v17
	v_add_co_u32_e32 v2, vcc, v4, v2
	v_addc_co_u32_e32 v3, vcc, v6, v3, vcc
	v_pack_b32_f16 v0, v11, v12
	global_store_dword v[2:3], v0, off
	v_add_u32_e32 v0, 0x320, v7
	v_lshlrev_b64 v[2:3], 2, v[0:1]
	v_pack_b32_f16 v0, v21, v22
	v_add_co_u32_e32 v2, vcc, v4, v2
	v_addc_co_u32_e32 v3, vcc, v6, v3, vcc
	global_store_dword v[2:3], v0, off
	v_add_u32_e32 v0, 0x440, v7
	v_lshlrev_b64 v[2:3], 2, v[0:1]
	v_sub_f16_e32 v23, v19, v10
	v_add_f16_e32 v24, v5, v20
	v_add_co_u32_e32 v2, vcc, v4, v2
	v_addc_co_u32_e32 v3, vcc, v6, v3, vcc
	v_pack_b32_f16 v0, v23, v24
	global_store_dword v[2:3], v0, off
	v_add_u32_e32 v0, 0x560, v7
	v_lshlrev_b64 v[2:3], 2, v[0:1]
	v_add_f16_e32 v10, v10, v19
	v_sub_f16_e32 v5, v20, v5
	v_add_co_u32_e32 v2, vcc, v4, v2
	v_addc_co_u32_e32 v3, vcc, v6, v3, vcc
	v_pack_b32_f16 v0, v10, v5
	global_store_dword v[2:3], v0, off
	v_add_u32_e32 v0, 0x680, v7
	v_lshlrev_b64 v[2:3], 2, v[0:1]
	v_pack_b32_f16 v0, v14, v15
	v_add_co_u32_e32 v2, vcc, v4, v2
	v_addc_co_u32_e32 v3, vcc, v6, v3, vcc
	global_store_dword v[2:3], v0, off
	v_add_u32_e32 v0, 0x7a0, v7
	v_lshlrev_b64 v[0:1], 2, v[0:1]
	v_sub_f16_e32 v8, v8, v18
	v_add_f16_e32 v13, v17, v13
	v_add_co_u32_e32 v0, vcc, v4, v0
	v_addc_co_u32_e32 v1, vcc, v6, v1, vcc
	v_pack_b32_f16 v2, v8, v13
	global_store_dword v[0:1], v2, off
.LBB0_20:
	s_endpgm
	.section	.rodata,"a",@progbits
	.p2align	6, 0x0
	.amdhsa_kernel fft_rtc_fwd_len2016_factors_2_2_2_2_2_3_3_7_wgs_224_tpt_112_halfLds_half_op_CI_CI_unitstride_sbrr_dirReg
		.amdhsa_group_segment_fixed_size 0
		.amdhsa_private_segment_fixed_size 0
		.amdhsa_kernarg_size 104
		.amdhsa_user_sgpr_count 6
		.amdhsa_user_sgpr_private_segment_buffer 1
		.amdhsa_user_sgpr_dispatch_ptr 0
		.amdhsa_user_sgpr_queue_ptr 0
		.amdhsa_user_sgpr_kernarg_segment_ptr 1
		.amdhsa_user_sgpr_dispatch_id 0
		.amdhsa_user_sgpr_flat_scratch_init 0
		.amdhsa_user_sgpr_private_segment_size 0
		.amdhsa_uses_dynamic_stack 0
		.amdhsa_system_sgpr_private_segment_wavefront_offset 0
		.amdhsa_system_sgpr_workgroup_id_x 1
		.amdhsa_system_sgpr_workgroup_id_y 0
		.amdhsa_system_sgpr_workgroup_id_z 0
		.amdhsa_system_sgpr_workgroup_info 0
		.amdhsa_system_vgpr_workitem_id 0
		.amdhsa_next_free_vgpr 72
		.amdhsa_next_free_sgpr 28
		.amdhsa_reserve_vcc 1
		.amdhsa_reserve_flat_scratch 0
		.amdhsa_float_round_mode_32 0
		.amdhsa_float_round_mode_16_64 0
		.amdhsa_float_denorm_mode_32 3
		.amdhsa_float_denorm_mode_16_64 3
		.amdhsa_dx10_clamp 1
		.amdhsa_ieee_mode 1
		.amdhsa_fp16_overflow 0
		.amdhsa_exception_fp_ieee_invalid_op 0
		.amdhsa_exception_fp_denorm_src 0
		.amdhsa_exception_fp_ieee_div_zero 0
		.amdhsa_exception_fp_ieee_overflow 0
		.amdhsa_exception_fp_ieee_underflow 0
		.amdhsa_exception_fp_ieee_inexact 0
		.amdhsa_exception_int_div_zero 0
	.end_amdhsa_kernel
	.text
.Lfunc_end0:
	.size	fft_rtc_fwd_len2016_factors_2_2_2_2_2_3_3_7_wgs_224_tpt_112_halfLds_half_op_CI_CI_unitstride_sbrr_dirReg, .Lfunc_end0-fft_rtc_fwd_len2016_factors_2_2_2_2_2_3_3_7_wgs_224_tpt_112_halfLds_half_op_CI_CI_unitstride_sbrr_dirReg
                                        ; -- End function
	.section	.AMDGPU.csdata,"",@progbits
; Kernel info:
; codeLenInByte = 14708
; NumSgprs: 32
; NumVgprs: 72
; ScratchSize: 0
; MemoryBound: 0
; FloatMode: 240
; IeeeMode: 1
; LDSByteSize: 0 bytes/workgroup (compile time only)
; SGPRBlocks: 3
; VGPRBlocks: 17
; NumSGPRsForWavesPerEU: 32
; NumVGPRsForWavesPerEU: 72
; Occupancy: 3
; WaveLimiterHint : 1
; COMPUTE_PGM_RSRC2:SCRATCH_EN: 0
; COMPUTE_PGM_RSRC2:USER_SGPR: 6
; COMPUTE_PGM_RSRC2:TRAP_HANDLER: 0
; COMPUTE_PGM_RSRC2:TGID_X_EN: 1
; COMPUTE_PGM_RSRC2:TGID_Y_EN: 0
; COMPUTE_PGM_RSRC2:TGID_Z_EN: 0
; COMPUTE_PGM_RSRC2:TIDIG_COMP_CNT: 0
	.type	__hip_cuid_c565851992fb95be,@object ; @__hip_cuid_c565851992fb95be
	.section	.bss,"aw",@nobits
	.globl	__hip_cuid_c565851992fb95be
__hip_cuid_c565851992fb95be:
	.byte	0                               ; 0x0
	.size	__hip_cuid_c565851992fb95be, 1

	.ident	"AMD clang version 19.0.0git (https://github.com/RadeonOpenCompute/llvm-project roc-6.4.0 25133 c7fe45cf4b819c5991fe208aaa96edf142730f1d)"
	.section	".note.GNU-stack","",@progbits
	.addrsig
	.addrsig_sym __hip_cuid_c565851992fb95be
	.amdgpu_metadata
---
amdhsa.kernels:
  - .args:
      - .actual_access:  read_only
        .address_space:  global
        .offset:         0
        .size:           8
        .value_kind:     global_buffer
      - .offset:         8
        .size:           8
        .value_kind:     by_value
      - .actual_access:  read_only
        .address_space:  global
        .offset:         16
        .size:           8
        .value_kind:     global_buffer
      - .actual_access:  read_only
        .address_space:  global
        .offset:         24
        .size:           8
        .value_kind:     global_buffer
      - .actual_access:  read_only
        .address_space:  global
        .offset:         32
        .size:           8
        .value_kind:     global_buffer
      - .offset:         40
        .size:           8
        .value_kind:     by_value
      - .actual_access:  read_only
        .address_space:  global
        .offset:         48
        .size:           8
        .value_kind:     global_buffer
      - .actual_access:  read_only
        .address_space:  global
        .offset:         56
        .size:           8
        .value_kind:     global_buffer
      - .offset:         64
        .size:           4
        .value_kind:     by_value
      - .actual_access:  read_only
        .address_space:  global
        .offset:         72
        .size:           8
        .value_kind:     global_buffer
      - .actual_access:  read_only
        .address_space:  global
        .offset:         80
        .size:           8
        .value_kind:     global_buffer
      - .actual_access:  read_only
        .address_space:  global
        .offset:         88
        .size:           8
        .value_kind:     global_buffer
      - .actual_access:  write_only
        .address_space:  global
        .offset:         96
        .size:           8
        .value_kind:     global_buffer
    .group_segment_fixed_size: 0
    .kernarg_segment_align: 8
    .kernarg_segment_size: 104
    .language:       OpenCL C
    .language_version:
      - 2
      - 0
    .max_flat_workgroup_size: 224
    .name:           fft_rtc_fwd_len2016_factors_2_2_2_2_2_3_3_7_wgs_224_tpt_112_halfLds_half_op_CI_CI_unitstride_sbrr_dirReg
    .private_segment_fixed_size: 0
    .sgpr_count:     32
    .sgpr_spill_count: 0
    .symbol:         fft_rtc_fwd_len2016_factors_2_2_2_2_2_3_3_7_wgs_224_tpt_112_halfLds_half_op_CI_CI_unitstride_sbrr_dirReg.kd
    .uniform_work_group_size: 1
    .uses_dynamic_stack: false
    .vgpr_count:     72
    .vgpr_spill_count: 0
    .wavefront_size: 64
amdhsa.target:   amdgcn-amd-amdhsa--gfx906
amdhsa.version:
  - 1
  - 2
...

	.end_amdgpu_metadata
